;; amdgpu-corpus repo=ROCm/rocFFT kind=compiled arch=gfx1201 opt=O3
	.text
	.amdgcn_target "amdgcn-amd-amdhsa--gfx1201"
	.amdhsa_code_object_version 6
	.protected	fft_rtc_back_len1701_factors_3_3_3_3_3_7_wgs_63_tpt_63_halfLds_half_ip_CI_sbrr_dirReg ; -- Begin function fft_rtc_back_len1701_factors_3_3_3_3_3_7_wgs_63_tpt_63_halfLds_half_ip_CI_sbrr_dirReg
	.globl	fft_rtc_back_len1701_factors_3_3_3_3_3_7_wgs_63_tpt_63_halfLds_half_ip_CI_sbrr_dirReg
	.p2align	8
	.type	fft_rtc_back_len1701_factors_3_3_3_3_3_7_wgs_63_tpt_63_halfLds_half_ip_CI_sbrr_dirReg,@function
fft_rtc_back_len1701_factors_3_3_3_3_3_7_wgs_63_tpt_63_halfLds_half_ip_CI_sbrr_dirReg: ; @fft_rtc_back_len1701_factors_3_3_3_3_3_7_wgs_63_tpt_63_halfLds_half_ip_CI_sbrr_dirReg
; %bb.0:
	s_clause 0x2
	s_load_b64 s[12:13], s[0:1], 0x18
	s_load_b128 s[4:7], s[0:1], 0x0
	s_load_b64 s[10:11], s[0:1], 0x50
	v_mul_u32_u24_e32 v1, 0x411, v0
	v_mov_b32_e32 v3, 0
	s_delay_alu instid0(VALU_DEP_2) | instskip(NEXT) | instid1(VALU_DEP_1)
	v_lshrrev_b32_e32 v1, 16, v1
	v_add_nc_u32_e32 v5, ttmp9, v1
	v_mov_b32_e32 v1, 0
	v_mov_b32_e32 v2, 0
	;; [unrolled: 1-line block ×3, first 2 shown]
	s_wait_kmcnt 0x0
	s_load_b64 s[8:9], s[12:13], 0x0
	v_cmp_lt_u64_e64 s2, s[6:7], 2
	s_delay_alu instid0(VALU_DEP_1)
	s_and_b32 vcc_lo, exec_lo, s2
	s_cbranch_vccnz .LBB0_8
; %bb.1:
	s_load_b64 s[2:3], s[0:1], 0x10
	v_mov_b32_e32 v1, 0
	v_mov_b32_e32 v2, 0
	s_add_nc_u64 s[14:15], s[12:13], 8
	s_mov_b64 s[16:17], 1
	s_wait_kmcnt 0x0
	s_add_nc_u64 s[18:19], s[2:3], 8
	s_mov_b32 s3, 0
.LBB0_2:                                ; =>This Inner Loop Header: Depth=1
	s_load_b64 s[20:21], s[18:19], 0x0
                                        ; implicit-def: $vgpr7_vgpr8
	s_mov_b32 s2, exec_lo
	s_wait_kmcnt 0x0
	v_or_b32_e32 v4, s21, v6
	s_delay_alu instid0(VALU_DEP_1)
	v_cmpx_ne_u64_e32 0, v[3:4]
	s_wait_alu 0xfffe
	s_xor_b32 s22, exec_lo, s2
	s_cbranch_execz .LBB0_4
; %bb.3:                                ;   in Loop: Header=BB0_2 Depth=1
	s_cvt_f32_u32 s2, s20
	s_cvt_f32_u32 s23, s21
	s_sub_nc_u64 s[26:27], 0, s[20:21]
	s_wait_alu 0xfffe
	s_delay_alu instid0(SALU_CYCLE_1) | instskip(SKIP_1) | instid1(SALU_CYCLE_2)
	s_fmamk_f32 s2, s23, 0x4f800000, s2
	s_wait_alu 0xfffe
	v_s_rcp_f32 s2, s2
	s_delay_alu instid0(TRANS32_DEP_1) | instskip(SKIP_1) | instid1(SALU_CYCLE_2)
	s_mul_f32 s2, s2, 0x5f7ffffc
	s_wait_alu 0xfffe
	s_mul_f32 s23, s2, 0x2f800000
	s_wait_alu 0xfffe
	s_delay_alu instid0(SALU_CYCLE_2) | instskip(SKIP_1) | instid1(SALU_CYCLE_2)
	s_trunc_f32 s23, s23
	s_wait_alu 0xfffe
	s_fmamk_f32 s2, s23, 0xcf800000, s2
	s_cvt_u32_f32 s25, s23
	s_wait_alu 0xfffe
	s_delay_alu instid0(SALU_CYCLE_1) | instskip(SKIP_1) | instid1(SALU_CYCLE_2)
	s_cvt_u32_f32 s24, s2
	s_wait_alu 0xfffe
	s_mul_u64 s[28:29], s[26:27], s[24:25]
	s_wait_alu 0xfffe
	s_mul_hi_u32 s31, s24, s29
	s_mul_i32 s30, s24, s29
	s_mul_hi_u32 s2, s24, s28
	s_mul_i32 s33, s25, s28
	s_wait_alu 0xfffe
	s_add_nc_u64 s[30:31], s[2:3], s[30:31]
	s_mul_hi_u32 s23, s25, s28
	s_mul_hi_u32 s34, s25, s29
	s_add_co_u32 s2, s30, s33
	s_wait_alu 0xfffe
	s_add_co_ci_u32 s2, s31, s23
	s_mul_i32 s28, s25, s29
	s_add_co_ci_u32 s29, s34, 0
	s_wait_alu 0xfffe
	s_add_nc_u64 s[28:29], s[2:3], s[28:29]
	s_wait_alu 0xfffe
	v_add_co_u32 v4, s2, s24, s28
	s_delay_alu instid0(VALU_DEP_1) | instskip(SKIP_1) | instid1(VALU_DEP_1)
	s_cmp_lg_u32 s2, 0
	s_add_co_ci_u32 s25, s25, s29
	v_readfirstlane_b32 s24, v4
	s_wait_alu 0xfffe
	s_delay_alu instid0(VALU_DEP_1)
	s_mul_u64 s[26:27], s[26:27], s[24:25]
	s_wait_alu 0xfffe
	s_mul_hi_u32 s29, s24, s27
	s_mul_i32 s28, s24, s27
	s_mul_hi_u32 s2, s24, s26
	s_mul_i32 s30, s25, s26
	s_wait_alu 0xfffe
	s_add_nc_u64 s[28:29], s[2:3], s[28:29]
	s_mul_hi_u32 s23, s25, s26
	s_mul_hi_u32 s24, s25, s27
	s_wait_alu 0xfffe
	s_add_co_u32 s2, s28, s30
	s_add_co_ci_u32 s2, s29, s23
	s_mul_i32 s26, s25, s27
	s_add_co_ci_u32 s27, s24, 0
	s_wait_alu 0xfffe
	s_add_nc_u64 s[26:27], s[2:3], s[26:27]
	s_wait_alu 0xfffe
	v_add_co_u32 v4, s2, v4, s26
	s_delay_alu instid0(VALU_DEP_1) | instskip(SKIP_1) | instid1(VALU_DEP_1)
	s_cmp_lg_u32 s2, 0
	s_add_co_ci_u32 s2, s25, s27
	v_mul_hi_u32 v13, v5, v4
	s_wait_alu 0xfffe
	v_mad_co_u64_u32 v[7:8], null, v5, s2, 0
	v_mad_co_u64_u32 v[9:10], null, v6, v4, 0
	;; [unrolled: 1-line block ×3, first 2 shown]
	s_delay_alu instid0(VALU_DEP_3) | instskip(SKIP_1) | instid1(VALU_DEP_4)
	v_add_co_u32 v4, vcc_lo, v13, v7
	s_wait_alu 0xfffd
	v_add_co_ci_u32_e32 v7, vcc_lo, 0, v8, vcc_lo
	s_delay_alu instid0(VALU_DEP_2) | instskip(SKIP_1) | instid1(VALU_DEP_2)
	v_add_co_u32 v4, vcc_lo, v4, v9
	s_wait_alu 0xfffd
	v_add_co_ci_u32_e32 v4, vcc_lo, v7, v10, vcc_lo
	s_wait_alu 0xfffd
	v_add_co_ci_u32_e32 v7, vcc_lo, 0, v12, vcc_lo
	s_delay_alu instid0(VALU_DEP_2) | instskip(SKIP_1) | instid1(VALU_DEP_2)
	v_add_co_u32 v4, vcc_lo, v4, v11
	s_wait_alu 0xfffd
	v_add_co_ci_u32_e32 v9, vcc_lo, 0, v7, vcc_lo
	s_delay_alu instid0(VALU_DEP_2) | instskip(SKIP_1) | instid1(VALU_DEP_3)
	v_mul_lo_u32 v10, s21, v4
	v_mad_co_u64_u32 v[7:8], null, s20, v4, 0
	v_mul_lo_u32 v11, s20, v9
	s_delay_alu instid0(VALU_DEP_2) | instskip(NEXT) | instid1(VALU_DEP_2)
	v_sub_co_u32 v7, vcc_lo, v5, v7
	v_add3_u32 v8, v8, v11, v10
	s_delay_alu instid0(VALU_DEP_1) | instskip(SKIP_1) | instid1(VALU_DEP_1)
	v_sub_nc_u32_e32 v10, v6, v8
	s_wait_alu 0xfffd
	v_subrev_co_ci_u32_e64 v10, s2, s21, v10, vcc_lo
	v_add_co_u32 v11, s2, v4, 2
	s_wait_alu 0xf1ff
	v_add_co_ci_u32_e64 v12, s2, 0, v9, s2
	v_sub_co_u32 v13, s2, v7, s20
	v_sub_co_ci_u32_e32 v8, vcc_lo, v6, v8, vcc_lo
	s_wait_alu 0xf1ff
	v_subrev_co_ci_u32_e64 v10, s2, 0, v10, s2
	s_delay_alu instid0(VALU_DEP_3) | instskip(NEXT) | instid1(VALU_DEP_3)
	v_cmp_le_u32_e32 vcc_lo, s20, v13
	v_cmp_eq_u32_e64 s2, s21, v8
	s_wait_alu 0xfffd
	v_cndmask_b32_e64 v13, 0, -1, vcc_lo
	v_cmp_le_u32_e32 vcc_lo, s21, v10
	s_wait_alu 0xfffd
	v_cndmask_b32_e64 v14, 0, -1, vcc_lo
	v_cmp_le_u32_e32 vcc_lo, s20, v7
	;; [unrolled: 3-line block ×3, first 2 shown]
	s_wait_alu 0xfffd
	v_cndmask_b32_e64 v15, 0, -1, vcc_lo
	v_cmp_eq_u32_e32 vcc_lo, s21, v10
	s_wait_alu 0xf1ff
	s_delay_alu instid0(VALU_DEP_2)
	v_cndmask_b32_e64 v7, v15, v7, s2
	s_wait_alu 0xfffd
	v_cndmask_b32_e32 v10, v14, v13, vcc_lo
	v_add_co_u32 v13, vcc_lo, v4, 1
	s_wait_alu 0xfffd
	v_add_co_ci_u32_e32 v14, vcc_lo, 0, v9, vcc_lo
	s_delay_alu instid0(VALU_DEP_3) | instskip(SKIP_2) | instid1(VALU_DEP_3)
	v_cmp_ne_u32_e32 vcc_lo, 0, v10
	s_wait_alu 0xfffd
	v_cndmask_b32_e32 v10, v13, v11, vcc_lo
	v_cndmask_b32_e32 v8, v14, v12, vcc_lo
	v_cmp_ne_u32_e32 vcc_lo, 0, v7
	s_wait_alu 0xfffd
	s_delay_alu instid0(VALU_DEP_2)
	v_dual_cndmask_b32 v7, v4, v10 :: v_dual_cndmask_b32 v8, v9, v8
.LBB0_4:                                ;   in Loop: Header=BB0_2 Depth=1
	s_wait_alu 0xfffe
	s_and_not1_saveexec_b32 s2, s22
	s_cbranch_execz .LBB0_6
; %bb.5:                                ;   in Loop: Header=BB0_2 Depth=1
	v_cvt_f32_u32_e32 v4, s20
	s_sub_co_i32 s22, 0, s20
	s_delay_alu instid0(VALU_DEP_1) | instskip(NEXT) | instid1(TRANS32_DEP_1)
	v_rcp_iflag_f32_e32 v4, v4
	v_mul_f32_e32 v4, 0x4f7ffffe, v4
	s_delay_alu instid0(VALU_DEP_1) | instskip(SKIP_1) | instid1(VALU_DEP_1)
	v_cvt_u32_f32_e32 v4, v4
	s_wait_alu 0xfffe
	v_mul_lo_u32 v7, s22, v4
	s_delay_alu instid0(VALU_DEP_1) | instskip(NEXT) | instid1(VALU_DEP_1)
	v_mul_hi_u32 v7, v4, v7
	v_add_nc_u32_e32 v4, v4, v7
	s_delay_alu instid0(VALU_DEP_1) | instskip(NEXT) | instid1(VALU_DEP_1)
	v_mul_hi_u32 v4, v5, v4
	v_mul_lo_u32 v7, v4, s20
	v_add_nc_u32_e32 v8, 1, v4
	s_delay_alu instid0(VALU_DEP_2) | instskip(NEXT) | instid1(VALU_DEP_1)
	v_sub_nc_u32_e32 v7, v5, v7
	v_subrev_nc_u32_e32 v9, s20, v7
	v_cmp_le_u32_e32 vcc_lo, s20, v7
	s_wait_alu 0xfffd
	s_delay_alu instid0(VALU_DEP_2) | instskip(NEXT) | instid1(VALU_DEP_1)
	v_dual_cndmask_b32 v7, v7, v9 :: v_dual_cndmask_b32 v4, v4, v8
	v_cmp_le_u32_e32 vcc_lo, s20, v7
	s_delay_alu instid0(VALU_DEP_2) | instskip(SKIP_1) | instid1(VALU_DEP_1)
	v_add_nc_u32_e32 v8, 1, v4
	s_wait_alu 0xfffd
	v_dual_cndmask_b32 v7, v4, v8 :: v_dual_mov_b32 v8, v3
.LBB0_6:                                ;   in Loop: Header=BB0_2 Depth=1
	s_wait_alu 0xfffe
	s_or_b32 exec_lo, exec_lo, s2
	s_load_b64 s[22:23], s[14:15], 0x0
	s_delay_alu instid0(VALU_DEP_1)
	v_mul_lo_u32 v4, v8, s20
	v_mul_lo_u32 v11, v7, s21
	v_mad_co_u64_u32 v[9:10], null, v7, s20, 0
	s_add_nc_u64 s[16:17], s[16:17], 1
	s_add_nc_u64 s[14:15], s[14:15], 8
	s_wait_alu 0xfffe
	v_cmp_ge_u64_e64 s2, s[16:17], s[6:7]
	s_add_nc_u64 s[18:19], s[18:19], 8
	s_delay_alu instid0(VALU_DEP_2) | instskip(NEXT) | instid1(VALU_DEP_3)
	v_add3_u32 v4, v10, v11, v4
	v_sub_co_u32 v5, vcc_lo, v5, v9
	s_wait_alu 0xfffd
	s_delay_alu instid0(VALU_DEP_2) | instskip(SKIP_3) | instid1(VALU_DEP_2)
	v_sub_co_ci_u32_e32 v4, vcc_lo, v6, v4, vcc_lo
	s_and_b32 vcc_lo, exec_lo, s2
	s_wait_kmcnt 0x0
	v_mul_lo_u32 v6, s23, v5
	v_mul_lo_u32 v4, s22, v4
	v_mad_co_u64_u32 v[1:2], null, s22, v5, v[1:2]
	s_delay_alu instid0(VALU_DEP_1)
	v_add3_u32 v2, v6, v2, v4
	s_wait_alu 0xfffe
	s_cbranch_vccnz .LBB0_9
; %bb.7:                                ;   in Loop: Header=BB0_2 Depth=1
	v_dual_mov_b32 v5, v7 :: v_dual_mov_b32 v6, v8
	s_branch .LBB0_2
.LBB0_8:
	v_dual_mov_b32 v8, v6 :: v_dual_mov_b32 v7, v5
.LBB0_9:
	s_lshl_b64 s[2:3], s[6:7], 3
	v_mul_hi_u32 v3, 0x4104105, v0
	s_wait_alu 0xfffe
	s_add_nc_u64 s[2:3], s[12:13], s[2:3]
	s_load_b64 s[0:1], s[0:1], 0x20
	s_load_b64 s[2:3], s[2:3], 0x0
	s_delay_alu instid0(VALU_DEP_1) | instskip(NEXT) | instid1(VALU_DEP_1)
	v_mul_u32_u24_e32 v3, 63, v3
	v_sub_nc_u32_e32 v4, v0, v3
	s_delay_alu instid0(VALU_DEP_1)
	v_add_nc_u32_e32 v9, 63, v4
	v_add_nc_u32_e32 v5, 0x7e, v4
	;; [unrolled: 1-line block ×4, first 2 shown]
	s_wait_kmcnt 0x0
	v_cmp_gt_u64_e32 vcc_lo, s[0:1], v[7:8]
	v_mul_lo_u32 v3, s2, v8
	v_mul_lo_u32 v6, s3, v7
	v_mad_co_u64_u32 v[0:1], null, s2, v7, v[1:2]
	v_cmp_le_u64_e64 s0, s[0:1], v[7:8]
	v_add_nc_u32_e32 v12, 0x17a, v4
	v_add_nc_u32_e32 v11, 0x1b9, v4
	;; [unrolled: 1-line block ×3, first 2 shown]
                                        ; implicit-def: $vgpr7
                                        ; implicit-def: $vgpr8
	v_add3_u32 v1, v6, v1, v3
                                        ; implicit-def: $vgpr6
	s_and_saveexec_b32 s1, s0
	s_wait_alu 0xfffe
	s_xor_b32 s0, exec_lo, s1
; %bb.10:
	v_add_nc_u32_e32 v7, 63, v4
	v_add_nc_u32_e32 v8, 0x7e, v4
	;; [unrolled: 1-line block ×8, first 2 shown]
; %bb.11:
	s_wait_alu 0xfffe
	s_or_saveexec_b32 s1, s0
	v_lshlrev_b64_e32 v[0:1], 2, v[0:1]
                                        ; implicit-def: $vgpr37
                                        ; implicit-def: $vgpr2
                                        ; implicit-def: $vgpr65
                                        ; implicit-def: $vgpr18
                                        ; implicit-def: $vgpr64
                                        ; implicit-def: $vgpr22
                                        ; implicit-def: $vgpr63
                                        ; implicit-def: $vgpr16
                                        ; implicit-def: $vgpr61
                                        ; implicit-def: $vgpr15
                                        ; implicit-def: $vgpr60
                                        ; implicit-def: $vgpr38
                                        ; implicit-def: $vgpr30
                                        ; implicit-def: $vgpr20
                                        ; implicit-def: $vgpr58
                                        ; implicit-def: $vgpr27
                                        ; implicit-def: $vgpr57
                                        ; implicit-def: $vgpr24
                                        ; implicit-def: $vgpr34
                                        ; implicit-def: $vgpr19
                                        ; implicit-def: $vgpr55
                                        ; implicit-def: $vgpr50
                                        ; implicit-def: $vgpr31
                                        ; implicit-def: $vgpr25
                                        ; implicit-def: $vgpr32
                                        ; implicit-def: $vgpr26
                                        ; implicit-def: $vgpr47
                                        ; implicit-def: $vgpr42
                                        ; implicit-def: $vgpr46
                                        ; implicit-def: $vgpr43
                                        ; implicit-def: $vgpr45
                                        ; implicit-def: $vgpr40
                                        ; implicit-def: $vgpr44
                                        ; implicit-def: $vgpr41
                                        ; implicit-def: $vgpr33
                                        ; implicit-def: $vgpr29
                                        ; implicit-def: $vgpr51
                                        ; implicit-def: $vgpr48
                                        ; implicit-def: $vgpr54
                                        ; implicit-def: $vgpr49
                                        ; implicit-def: $vgpr56
                                        ; implicit-def: $vgpr53
                                        ; implicit-def: $vgpr59
                                        ; implicit-def: $vgpr28
                                        ; implicit-def: $vgpr35
                                        ; implicit-def: $vgpr21
                                        ; implicit-def: $vgpr62
                                        ; implicit-def: $vgpr39
                                        ; implicit-def: $vgpr36
                                        ; implicit-def: $vgpr3
                                        ; implicit-def: $vgpr66
                                        ; implicit-def: $vgpr23
                                        ; implicit-def: $vgpr52
                                        ; implicit-def: $vgpr17
	s_wait_alu 0xfffe
	s_xor_b32 exec_lo, exec_lo, s1
	s_cbranch_execz .LBB0_13
; %bb.12:
	v_add_nc_u32_e32 v8, 0x237, v4
	v_mad_co_u64_u32 v[2:3], null, s8, v4, 0
	v_add_co_u32 v53, s0, s10, v0
	s_delay_alu instid0(VALU_DEP_3) | instskip(SKIP_2) | instid1(VALU_DEP_4)
	v_mad_co_u64_u32 v[6:7], null, s8, v8, 0
	s_wait_alu 0xf1ff
	v_add_co_ci_u32_e64 v54, s0, s11, v1, s0
	v_mad_co_u64_u32 v[17:18], null, s9, v4, v[3:4]
	v_add_nc_u32_e32 v20, 0x46e, v4
	v_mad_co_u64_u32 v[18:19], null, s8, v9, 0
	v_dual_mov_b32 v3, v7 :: v_dual_add_nc_u32 v32, 0x2b5, v4
	v_add_nc_u32_e32 v38, 0x2f4, v4
	v_add_nc_u32_e32 v52, 0x42f, v4
	;; [unrolled: 1-line block ×3, first 2 shown]
	s_delay_alu instid0(VALU_DEP_4) | instskip(SKIP_4) | instid1(VALU_DEP_4)
	v_mad_co_u64_u32 v[7:8], null, s9, v8, v[3:4]
	v_mov_b32_e32 v3, v17
	v_mad_co_u64_u32 v[15:16], null, s8, v20, 0
	v_add_nc_u32_e32 v39, 0x52b, v4
	v_add_nc_u32_e32 v55, 0x666, v4
	v_lshlrev_b64_e32 v[2:3], 2, v[2:3]
	v_lshlrev_b64_e32 v[6:7], 2, v[6:7]
	v_mov_b32_e32 v8, v16
	s_delay_alu instid0(VALU_DEP_3) | instskip(SKIP_1) | instid1(VALU_DEP_4)
	v_add_co_u32 v2, s0, v53, v2
	s_wait_alu 0xf1ff
	v_add_co_ci_u32_e64 v3, s0, v54, v3, s0
	s_delay_alu instid0(VALU_DEP_3) | instskip(SKIP_1) | instid1(VALU_DEP_1)
	v_mad_co_u64_u32 v[16:17], null, s9, v20, v[8:9]
	v_dual_mov_b32 v8, v19 :: v_dual_add_nc_u32 v17, 0x276, v4
	v_mad_co_u64_u32 v[20:21], null, s8, v17, 0
	s_delay_alu instid0(VALU_DEP_2) | instskip(SKIP_4) | instid1(VALU_DEP_4)
	v_mad_co_u64_u32 v[22:23], null, s9, v9, v[8:9]
	v_add_co_u32 v23, s0, v53, v6
	s_wait_alu 0xf1ff
	v_add_co_ci_u32_e64 v24, s0, v54, v7, s0
	v_lshlrev_b64_e32 v[7:8], 2, v[15:16]
	v_dual_mov_b32 v6, v21 :: v_dual_mov_b32 v19, v22
	v_mad_co_u64_u32 v[15:16], null, s8, v27, 0
	s_delay_alu instid0(VALU_DEP_2) | instskip(SKIP_1) | instid1(VALU_DEP_4)
	v_mad_co_u64_u32 v[25:26], null, s9, v17, v[6:7]
	v_add_co_u32 v7, s0, v53, v7
	v_lshlrev_b64_e32 v[17:18], 2, v[18:19]
	s_delay_alu instid0(VALU_DEP_4)
	v_mov_b32_e32 v6, v16
	s_wait_alu 0xf1ff
	v_add_co_ci_u32_e64 v8, s0, v54, v8, s0
	v_mov_b32_e32 v21, v25
	v_mad_co_u64_u32 v[25:26], null, s8, v5, 0
	v_mad_co_u64_u32 v[27:28], null, s9, v27, v[6:7]
	v_add_co_u32 v28, s0, v53, v17
	s_wait_alu 0xf1ff
	v_add_co_ci_u32_e64 v29, s0, v54, v18, s0
	v_lshlrev_b64_e32 v[17:18], 2, v[20:21]
	v_mad_co_u64_u32 v[19:20], null, s8, v32, 0
	v_mov_b32_e32 v6, v26
	s_delay_alu instid0(VALU_DEP_3) | instskip(NEXT) | instid1(VALU_DEP_2)
	v_add_co_u32 v30, s0, v53, v17
	v_mad_co_u64_u32 v[21:22], null, s9, v5, v[6:7]
	s_delay_alu instid0(VALU_DEP_4) | instskip(SKIP_3) | instid1(VALU_DEP_3)
	v_mov_b32_e32 v6, v20
	s_wait_alu 0xf1ff
	v_add_co_ci_u32_e64 v31, s0, v54, v18, s0
	v_add_nc_u32_e32 v22, 0x4ec, v4
	v_mad_co_u64_u32 v[17:18], null, s9, v32, v[6:7]
	v_mov_b32_e32 v26, v21
	s_delay_alu instid0(VALU_DEP_3) | instskip(SKIP_1) | instid1(VALU_DEP_2)
	v_mad_co_u64_u32 v[32:33], null, s8, v22, 0
	v_add_nc_u32_e32 v6, 0xbd, v4
	v_dual_mov_b32 v20, v17 :: v_dual_mov_b32 v17, v33
	s_delay_alu instid0(VALU_DEP_1) | instskip(NEXT) | instid1(VALU_DEP_1)
	v_lshlrev_b64_e32 v[18:19], 2, v[19:20]
	v_mad_co_u64_u32 v[20:21], null, s9, v22, v[17:18]
	s_delay_alu instid0(VALU_DEP_1) | instskip(NEXT) | instid1(VALU_DEP_1)
	v_dual_mov_b32 v16, v27 :: v_dual_mov_b32 v33, v20
	v_lshlrev_b64_e32 v[15:16], 2, v[15:16]
	s_delay_alu instid0(VALU_DEP_1) | instskip(SKIP_1) | instid1(VALU_DEP_2)
	v_add_co_u32 v34, s0, v53, v15
	s_wait_alu 0xf1ff
	v_add_co_ci_u32_e64 v35, s0, v54, v16, s0
	v_lshlrev_b64_e32 v[15:16], 2, v[25:26]
	v_mad_co_u64_u32 v[25:26], null, s8, v6, 0
	s_delay_alu instid0(VALU_DEP_2) | instskip(SKIP_1) | instid1(VALU_DEP_3)
	v_add_co_u32 v36, s0, v53, v15
	s_wait_alu 0xf1ff
	v_add_co_ci_u32_e64 v37, s0, v54, v16, s0
	s_delay_alu instid0(VALU_DEP_3) | instskip(SKIP_3) | instid1(VALU_DEP_3)
	v_mov_b32_e32 v15, v26
	v_add_co_u32 v26, s0, v53, v18
	s_wait_alu 0xf1ff
	v_add_co_ci_u32_e64 v27, s0, v54, v19, s0
	v_mad_co_u64_u32 v[19:20], null, s9, v6, v[15:16]
	v_mad_co_u64_u32 v[20:21], null, s8, v38, 0
	s_clause 0x7
	global_load_b32 v2, v[2:3], off
	global_load_b32 v18, v[23:24], off
	;; [unrolled: 1-line block ×8, first 2 shown]
	v_mad_co_u64_u32 v[29:30], null, s8, v39, 0
	v_lshlrev_b64_e32 v[27:28], 2, v[32:33]
	v_dual_mov_b32 v26, v19 :: v_dual_add_nc_u32 v37, 0x5a9, v4
	v_mov_b32_e32 v7, v21
	v_mad_co_u64_u32 v[31:32], null, s8, v14, 0
	s_delay_alu instid0(VALU_DEP_3) | instskip(SKIP_1) | instid1(VALU_DEP_4)
	v_lshlrev_b64_e32 v[24:25], 2, v[25:26]
	v_add_nc_u32_e32 v26, 0x333, v4
	v_mad_co_u64_u32 v[7:8], null, s9, v38, v[7:8]
	v_mov_b32_e32 v8, v30
	v_add_co_u32 v27, s0, v53, v27
	s_delay_alu instid0(VALU_DEP_4)
	v_mad_co_u64_u32 v[33:34], null, s8, v26, 0
	s_wait_alu 0xf1ff
	v_add_co_ci_u32_e64 v28, s0, v54, v28, s0
	v_mov_b32_e32 v21, v7
	v_mad_co_u64_u32 v[7:8], null, s9, v39, v[8:9]
	v_mov_b32_e32 v8, v32
	v_add_co_u32 v24, s0, v53, v24
	s_delay_alu instid0(VALU_DEP_4)
	v_lshlrev_b64_e32 v[19:20], 2, v[20:21]
	v_add_nc_u32_e32 v21, 0x56a, v4
	s_wait_alu 0xf1ff
	v_add_co_ci_u32_e64 v25, s0, v54, v25, s0
	v_mov_b32_e32 v30, v7
	v_mad_co_u64_u32 v[7:8], null, s9, v14, v[8:9]
	v_add_co_u32 v35, s0, v53, v19
	s_wait_alu 0xf1ff
	v_add_co_ci_u32_e64 v36, s0, v54, v20, s0
	v_lshlrev_b64_e32 v[19:20], 2, v[29:30]
	v_mov_b32_e32 v8, v34
	v_mad_co_u64_u32 v[29:30], null, s8, v21, 0
	v_mov_b32_e32 v32, v7
	s_delay_alu instid0(VALU_DEP_3)
	v_mad_co_u64_u32 v[7:8], null, s9, v26, v[8:9]
	v_add_co_u32 v40, s0, v53, v19
	s_wait_alu 0xf1ff
	v_add_co_ci_u32_e64 v41, s0, v54, v20, s0
	v_lshlrev_b64_e32 v[19:20], 2, v[31:32]
	v_mov_b32_e32 v8, v30
	v_mad_co_u64_u32 v[31:32], null, s8, v13, 0
	v_mov_b32_e32 v34, v7
	v_add_nc_u32_e32 v26, 0x372, v4
	s_delay_alu instid0(VALU_DEP_4)
	v_mad_co_u64_u32 v[7:8], null, s9, v21, v[8:9]
	v_add_co_u32 v42, s0, v53, v19
	v_mov_b32_e32 v8, v32
	s_wait_alu 0xf1ff
	v_add_co_ci_u32_e64 v43, s0, v54, v20, s0
	v_lshlrev_b64_e32 v[19:20], 2, v[33:34]
	v_mov_b32_e32 v30, v7
	v_mad_co_u64_u32 v[7:8], null, s9, v13, v[8:9]
	v_mad_co_u64_u32 v[33:34], null, s8, v26, 0
	s_delay_alu instid0(VALU_DEP_4) | instskip(SKIP_2) | instid1(VALU_DEP_4)
	v_add_co_u32 v44, s0, v53, v19
	s_wait_alu 0xf1ff
	v_add_co_ci_u32_e64 v45, s0, v54, v20, s0
	v_mov_b32_e32 v32, v7
	v_lshlrev_b64_e32 v[7:8], 2, v[29:30]
	v_mov_b32_e32 v19, v34
	v_mad_co_u64_u32 v[29:30], null, s8, v37, 0
	s_delay_alu instid0(VALU_DEP_4) | instskip(NEXT) | instid1(VALU_DEP_4)
	v_lshlrev_b64_e32 v[20:21], 2, v[31:32]
	v_add_co_u32 v7, s0, v53, v7
	s_wait_alu 0xf1ff
	v_add_co_ci_u32_e64 v8, s0, v54, v8, s0
	s_delay_alu instid0(VALU_DEP_3) | instskip(SKIP_4) | instid1(VALU_DEP_4)
	v_mad_co_u64_u32 v[31:32], null, s9, v26, v[19:20]
	v_mov_b32_e32 v19, v30
	v_add_co_u32 v46, s0, v53, v20
	s_wait_alu 0xf1ff
	v_add_co_ci_u32_e64 v47, s0, v54, v21, s0
	v_mov_b32_e32 v34, v31
	v_mad_co_u64_u32 v[30:31], null, s9, v37, v[19:20]
	s_clause 0x7
	global_load_b32 v38, v[27:28], off
	global_load_b32 v20, v[24:25], off
	;; [unrolled: 1-line block ×8, first 2 shown]
	v_mad_co_u64_u32 v[31:32], null, s8, v12, 0
	v_add_nc_u32_e32 v37, 0x3b1, v4
	v_lshlrev_b64_e32 v[7:8], 2, v[33:34]
	v_add_nc_u32_e32 v42, 0x5e8, v4
	v_lshlrev_b64_e32 v[29:30], 2, v[29:30]
	v_add_nc_u32_e32 v46, 0x3f0, v4
	v_mad_co_u64_u32 v[33:34], null, s8, v37, 0
	v_mov_b32_e32 v25, v32
	v_mad_co_u64_u32 v[35:36], null, s8, v42, 0
	v_add_co_u32 v7, s0, v53, v7
	s_delay_alu instid0(VALU_DEP_3) | instskip(SKIP_3) | instid1(VALU_DEP_3)
	v_mad_co_u64_u32 v[25:26], null, s9, v12, v[25:26]
	v_mov_b32_e32 v26, v34
	s_wait_alu 0xf1ff
	v_add_co_ci_u32_e64 v8, s0, v54, v8, s0
	v_dual_mov_b32 v32, v25 :: v_dual_add_nc_u32 v47, 0x627, v4
	v_add_co_u32 v25, s0, v53, v29
	s_wait_loadcnt 0xe
	v_lshrrev_b32_e32 v65, 16, v18
	s_wait_loadcnt 0xd
	v_lshrrev_b32_e32 v64, 16, v22
	;; [unrolled: 2-line block ×7, first 2 shown]
	s_wait_loadcnt 0x4
	v_mad_co_u64_u32 v[40:41], null, s9, v37, v[26:27]
	s_wait_alu 0xf1ff
	v_add_co_ci_u32_e64 v26, s0, v54, v30, s0
	v_lshlrev_b64_e32 v[29:30], 2, v[31:32]
	v_mov_b32_e32 v31, v36
	v_lshrrev_b32_e32 v58, 16, v27
	s_wait_loadcnt 0x2
	v_lshrrev_b32_e32 v59, 16, v28
	v_mov_b32_e32 v34, v40
	v_mad_co_u64_u32 v[40:41], null, s8, v11, 0
	v_mad_co_u64_u32 v[31:32], null, s9, v42, v[31:32]
	s_delay_alu instid0(VALU_DEP_3)
	v_lshlrev_b64_e32 v[32:33], 2, v[33:34]
	v_add_co_u32 v29, s0, v53, v29
	v_mad_co_u64_u32 v[42:43], null, s8, v46, 0
	v_mov_b32_e32 v34, v41
	v_mov_b32_e32 v36, v31
	s_wait_alu 0xf1ff
	v_add_co_ci_u32_e64 v30, s0, v54, v30, s0
	v_add_co_u32 v31, s0, v53, v32
	v_mad_co_u64_u32 v[44:45], null, s9, v11, v[34:35]
	s_wait_alu 0xf1ff
	v_add_co_ci_u32_e64 v32, s0, v54, v33, s0
	v_lshlrev_b64_e32 v[33:34], 2, v[35:36]
	v_mad_co_u64_u32 v[36:37], null, s8, v47, 0
	v_mov_b32_e32 v35, v43
	v_mov_b32_e32 v41, v44
	s_wait_loadcnt 0x1
	v_lshrrev_b32_e32 v57, 16, v24
	v_add_co_u32 v33, s0, v53, v33
	s_wait_alu 0xf1ff
	v_add_co_ci_u32_e64 v34, s0, v54, v34, s0
	v_mad_co_u64_u32 v[43:44], null, s9, v46, v[35:36]
	v_mad_co_u64_u32 v[44:45], null, s8, v10, 0
	v_mov_b32_e32 v35, v37
	v_lshlrev_b64_e32 v[40:41], 2, v[40:41]
	s_delay_alu instid0(VALU_DEP_4) | instskip(NEXT) | instid1(VALU_DEP_3)
	v_lshlrev_b64_e32 v[42:43], 2, v[42:43]
	v_mad_co_u64_u32 v[46:47], null, s9, v47, v[35:36]
	v_mov_b32_e32 v35, v45
	v_mad_co_u64_u32 v[47:48], null, s8, v52, 0
	v_add_co_u32 v40, s0, v53, v40
	s_delay_alu instid0(VALU_DEP_3) | instskip(SKIP_1) | instid1(VALU_DEP_4)
	v_mad_co_u64_u32 v[49:50], null, s9, v10, v[35:36]
	v_mad_co_u64_u32 v[50:51], null, s8, v55, 0
	v_mov_b32_e32 v35, v48
	v_mov_b32_e32 v37, v46
	s_wait_alu 0xf1ff
	v_add_co_ci_u32_e64 v41, s0, v54, v41, s0
	v_mov_b32_e32 v45, v49
	v_mad_co_u64_u32 v[48:49], null, s9, v52, v[35:36]
	v_lshlrev_b64_e32 v[36:37], 2, v[36:37]
	v_mov_b32_e32 v35, v51
	v_add_co_u32 v42, s0, v53, v42
	v_lshlrev_b64_e32 v[44:45], 2, v[44:45]
	s_wait_alu 0xf1ff
	v_add_co_ci_u32_e64 v43, s0, v54, v43, s0
	v_mad_co_u64_u32 v[51:52], null, s9, v55, v[35:36]
	v_add_co_u32 v35, s0, v53, v36
	v_lshlrev_b64_e32 v[46:47], 2, v[47:48]
	s_wait_alu 0xf1ff
	v_add_co_ci_u32_e64 v36, s0, v54, v37, s0
	v_add_co_u32 v44, s0, v53, v44
	v_lshlrev_b64_e32 v[48:49], 2, v[50:51]
	s_wait_alu 0xf1ff
	v_add_co_ci_u32_e64 v45, s0, v54, v45, s0
	v_add_co_u32 v46, s0, v53, v46
	s_wait_alu 0xf1ff
	v_add_co_ci_u32_e64 v47, s0, v54, v47, s0
	v_add_co_u32 v51, s0, v53, v48
	s_wait_alu 0xf1ff
	v_add_co_ci_u32_e64 v52, s0, v54, v49, s0
	s_clause 0xa
	global_load_b32 v50, v[7:8], off
	global_load_b32 v53, v[25:26], off
	;; [unrolled: 1-line block ×11, first 2 shown]
	v_mov_b32_e32 v7, v9
	v_lshrrev_b32_e32 v37, 16, v2
	v_lshrrev_b32_e32 v52, 16, v17
	;; [unrolled: 1-line block ×5, first 2 shown]
	s_wait_loadcnt 0xb
	v_lshrrev_b32_e32 v34, 16, v19
	v_mov_b32_e32 v8, v5
	s_wait_loadcnt 0xa
	v_lshrrev_b32_e32 v55, 16, v50
	s_wait_loadcnt 0x9
	v_lshrrev_b32_e32 v56, 16, v53
	;; [unrolled: 2-line block ×11, first 2 shown]
.LBB0_13:
	s_or_b32 exec_lo, exec_lo, s1
	v_add_f16_e32 v70, v65, v64
	v_add_f16_e32 v67, v18, v22
	v_add_f16_e32 v68, v2, v18
	v_sub_f16_e32 v69, v65, v64
	v_add_f16_e32 v65, v37, v65
	v_sub_f16_e32 v18, v18, v22
	v_fmac_f16_e32 v37, -0.5, v70
	v_fmac_f16_e32 v2, -0.5, v67
	v_add_f16_e32 v22, v68, v22
	v_add_f16_e32 v65, v65, v64
	;; [unrolled: 1-line block ×3, first 2 shown]
	v_fmamk_f16 v68, v18, 0x3aee, v37
	v_fmac_f16_e32 v37, 0xbaee, v18
	v_add_f16_e32 v18, v63, v66
	v_fmamk_f16 v67, v69, 0xbaee, v2
	v_fmac_f16_e32 v2, 0x3aee, v69
	v_add_f16_e32 v69, v16, v17
	v_fmac_f16_e32 v17, -0.5, v64
	v_sub_f16_e32 v64, v63, v66
	v_add_f16_e32 v63, v63, v52
	v_fmac_f16_e32 v52, -0.5, v18
	v_sub_f16_e32 v16, v16, v23
	v_add_f16_e32 v69, v23, v69
	v_add_f16_e32 v23, v15, v38
	v_add_f16_e32 v63, v66, v63
	v_fmamk_f16 v18, v64, 0xbaee, v17
	v_fmamk_f16 v66, v16, 0x3aee, v52
	v_fmac_f16_e32 v52, 0xbaee, v16
	v_add_f16_e32 v16, v61, v60
	v_fmac_f16_e32 v17, 0x3aee, v64
	v_add_f16_e32 v64, v15, v3
	v_fmac_f16_e32 v3, -0.5, v23
	v_sub_f16_e32 v23, v61, v60
	v_add_f16_e32 v61, v61, v36
	v_fmac_f16_e32 v36, -0.5, v16
	v_sub_f16_e32 v15, v15, v38
	v_add_f16_e32 v16, v27, v39
	v_add_f16_e32 v64, v38, v64
	v_fmamk_f16 v38, v23, 0xbaee, v3
	v_fmac_f16_e32 v3, 0x3aee, v23
	v_fmamk_f16 v70, v15, 0x3aee, v36
	v_fmac_f16_e32 v36, 0xbaee, v15
	v_add_f16_e32 v15, v58, v62
	v_add_f16_e32 v60, v60, v61
	;; [unrolled: 1-line block ×3, first 2 shown]
	v_fmac_f16_e32 v20, -0.5, v16
	v_sub_f16_e32 v16, v62, v58
	v_add_f16_e32 v61, v30, v62
	v_fmac_f16_e32 v30, -0.5, v15
	v_sub_f16_e32 v15, v39, v27
	v_add_f16_e32 v23, v27, v23
	v_fmamk_f16 v27, v16, 0xbaee, v20
	v_fmac_f16_e32 v20, 0x3aee, v16
	v_add_f16_e32 v16, v24, v28
	v_fmamk_f16 v76, v15, 0x3aee, v30
	v_fmac_f16_e32 v30, 0xbaee, v15
	v_add_f16_e32 v15, v57, v59
	v_add_f16_e32 v75, v58, v61
	;; [unrolled: 1-line block ×3, first 2 shown]
	v_fmac_f16_e32 v21, -0.5, v16
	v_sub_f16_e32 v16, v59, v57
	v_add_f16_e32 v58, v59, v35
	v_fmac_f16_e32 v35, -0.5, v15
	v_sub_f16_e32 v15, v28, v24
	v_add_f16_e32 v39, v24, v39
	v_fmamk_f16 v24, v16, 0xbaee, v21
	v_fmac_f16_e32 v21, 0x3aee, v16
	v_add_f16_e32 v16, v50, v53
	v_fmamk_f16 v80, v15, 0x3aee, v35
	v_fmac_f16_e32 v35, 0xbaee, v15
	v_add_f16_e32 v15, v55, v56
	v_add_f16_e32 v28, v19, v50
	v_fmac_f16_e32 v19, -0.5, v16
	v_sub_f16_e32 v16, v55, v56
	v_add_f16_e32 v55, v34, v55
	v_fmac_f16_e32 v34, -0.5, v15
	v_sub_f16_e32 v15, v50, v53
	v_add_f16_e32 v28, v28, v53
	v_fmamk_f16 v50, v16, 0xbaee, v19
	v_fmac_f16_e32 v19, 0x3aee, v16
	v_add_f16_e32 v53, v55, v56
	v_add_f16_e32 v16, v48, v49
	v_fmamk_f16 v55, v15, 0x3aee, v34
	v_fmac_f16_e32 v34, 0xbaee, v15
	v_add_f16_e32 v15, v51, v54
	v_add_f16_e32 v56, v25, v49
	v_fmac_f16_e32 v25, -0.5, v16
	v_sub_f16_e32 v16, v54, v51
	v_add_f16_e32 v54, v31, v54
	v_fmac_f16_e32 v31, -0.5, v15
	v_sub_f16_e32 v15, v49, v48
	v_add_f16_e32 v56, v48, v56
	v_fmamk_f16 v48, v16, 0xbaee, v25
	v_fmac_f16_e32 v25, 0x3aee, v16
	v_add_f16_e32 v16, v42, v43
	v_fmamk_f16 v81, v15, 0x3aee, v31
	v_fmac_f16_e32 v31, 0xbaee, v15
	v_add_f16_e32 v15, v47, v46
	v_add_f16_e32 v49, v26, v42
	v_fmac_f16_e32 v26, -0.5, v16
	v_sub_f16_e32 v16, v47, v46
	v_add_f16_e32 v47, v32, v47
	v_fmac_f16_e32 v32, -0.5, v15
	v_sub_f16_e32 v15, v42, v43
	v_add_f16_e32 v49, v49, v43
	v_fmamk_f16 v42, v16, 0xbaee, v26
	v_fmac_f16_e32 v26, 0x3aee, v16
	v_add_f16_e32 v16, v40, v41
	v_fmamk_f16 v83, v15, 0x3aee, v32
	v_fmac_f16_e32 v32, 0xbaee, v15
	v_add_f16_e32 v15, v45, v44
	v_add_f16_e32 v43, v40, v29
	v_fmac_f16_e32 v29, -0.5, v16
	v_sub_f16_e32 v16, v45, v44
	v_add_f16_e32 v45, v45, v33
	v_fmac_f16_e32 v33, -0.5, v15
	v_sub_f16_e32 v15, v40, v41
	v_mad_u32_u24 v84, v4, 6, 0
	v_fmamk_f16 v40, v16, 0xbaee, v29
	v_fmac_f16_e32 v29, 0x3aee, v16
	v_mad_i32_i24 v16, v7, 6, 0
	v_fmamk_f16 v86, v15, 0x3aee, v33
	v_fmac_f16_e32 v33, 0xbaee, v15
	v_mad_i32_i24 v15, v8, 6, 0
	ds_store_b16 v84, v22
	ds_store_b16 v84, v67 offset:2
	ds_store_b16 v84, v2 offset:4
	ds_store_b16 v16, v69
	ds_store_b16 v16, v18 offset:2
	ds_store_b16 v16, v17 offset:4
	v_mad_i32_i24 v18, v6, 6, 0
	ds_store_b16 v15, v64
	ds_store_b16 v15, v38 offset:2
	ds_store_b16 v15, v3 offset:4
	v_mad_i32_i24 v3, v14, 6, 0
	v_mad_i32_i24 v69, v13, 6, 0
	;; [unrolled: 1-line block ×3, first 2 shown]
	ds_store_b16 v18, v23
	ds_store_b16 v18, v27 offset:2
	ds_store_b16 v18, v20 offset:4
	ds_store_b16 v3, v39
	ds_store_b16 v3, v24 offset:2
	ds_store_b16 v3, v21 offset:4
	;; [unrolled: 3-line block ×3, first 2 shown]
	v_lshlrev_b32_e32 v2, 1, v4
	v_lshlrev_b32_e32 v19, 2, v6
	v_mad_i32_i24 v88, v11, 6, 0
	v_lshlrev_b32_e32 v22, 2, v14
	v_lshlrev_b32_e32 v23, 2, v13
	;; [unrolled: 1-line block ×3, first 2 shown]
	v_add_f16_e32 v43, v41, v43
	v_mad_i32_i24 v89, v10, 6, 0
	ds_store_b16 v87, v56
	ds_store_b16 v87, v48 offset:2
	ds_store_b16 v87, v25 offset:4
	ds_store_b16 v88, v49
	ds_store_b16 v88, v42 offset:2
	ds_store_b16 v88, v26 offset:4
	;; [unrolled: 3-line block ×3, first 2 shown]
	v_lshlrev_b32_e32 v25, 2, v11
	v_lshlrev_b32_e32 v26, 2, v10
	v_add_nc_u32_e32 v17, 0, v2
	v_lshlrev_b32_e32 v20, 2, v8
	v_lshlrev_b32_e32 v21, 2, v7
	v_sub_nc_u32_e32 v27, v18, v19
	v_sub_nc_u32_e32 v28, v3, v22
	;; [unrolled: 1-line block ×6, first 2 shown]
	v_add_f16_e32 v79, v57, v58
	v_add_f16_e32 v54, v51, v54
	;; [unrolled: 1-line block ×4, first 2 shown]
	global_wb scope:SCOPE_SE
	s_wait_dscnt 0x0
	s_barrier_signal -1
	s_barrier_wait -1
	global_inv scope:SCOPE_SE
	v_sub_nc_u32_e32 v23, v15, v20
	v_sub_nc_u32_e32 v22, v16, v21
	ds_load_u16 v43, v27
	ds_load_u16 v40, v28
	ds_load_u16 v38, v29
	ds_load_u16 v64, v17 offset:2520
	ds_load_u16 v61, v17 offset:2646
	;; [unrolled: 1-line block ×4, first 2 shown]
	ds_load_u16 v45, v17
	ds_load_u16 v74, v17 offset:1134
	ds_load_u16 v73, v17 offset:1260
	;; [unrolled: 1-line block ×10, first 2 shown]
	ds_load_u16 v42, v24
	ds_load_u16 v41, v25
	;; [unrolled: 1-line block ×3, first 2 shown]
	ds_load_u16 v77, v17 offset:2394
	ds_load_u16 v78, v17 offset:2268
	;; [unrolled: 1-line block ×3, first 2 shown]
	ds_load_u16 v44, v23
	ds_load_u16 v46, v22
	ds_load_u16 v49, v17 offset:3276
	global_wb scope:SCOPE_SE
	s_wait_dscnt 0x0
	s_barrier_signal -1
	s_barrier_wait -1
	global_inv scope:SCOPE_SE
	ds_store_b16 v84, v65
	ds_store_b16 v84, v68 offset:2
	ds_store_b16 v84, v37 offset:4
	v_and_b32_e32 v37, 0xff, v4
	ds_store_b16 v16, v63
	ds_store_b16 v16, v66 offset:2
	ds_store_b16 v16, v52 offset:4
	ds_store_b16 v15, v60
	ds_store_b16 v15, v70 offset:2
	ds_store_b16 v15, v36 offset:4
	;; [unrolled: 3-line block ×5, first 2 shown]
	v_and_b32_e32 v3, 0xff, v7
	v_mul_lo_u16 v36, 0xab, v37
	ds_store_b16 v87, v54
	ds_store_b16 v87, v81 offset:2
	ds_store_b16 v87, v31 offset:4
	v_and_b32_e32 v31, 0xff, v6
	v_and_b32_e32 v30, 0xff, v8
	v_mul_lo_u16 v35, 0xab, v3
	v_lshrrev_b16 v52, 9, v36
	ds_store_b16 v88, v82
	ds_store_b16 v88, v83 offset:2
	ds_store_b16 v88, v32 offset:4
	ds_store_b16 v89, v85
	ds_store_b16 v89, v86 offset:2
	ds_store_b16 v89, v33 offset:4
	v_mul_lo_u16 v36, 0xab, v30
	v_lshrrev_b16 v55, 9, v35
	v_mul_lo_u16 v34, v52, 3
	v_and_b32_e32 v35, 0xffff, v14
	global_wb scope:SCOPE_SE
	s_wait_dscnt 0x0
	v_lshrrev_b16 v54, 9, v36
	v_mul_lo_u16 v33, v55, 3
	v_sub_nc_u16 v32, v4, v34
	v_mul_lo_u16 v34, 0xab, v31
	s_barrier_signal -1
	s_barrier_wait -1
	v_sub_nc_u16 v33, v7, v33
	v_and_b32_e32 v56, 0xff, v32
	v_lshrrev_b16 v53, 9, v34
	v_mul_lo_u16 v32, v54, 3
	global_inv scope:SCOPE_SE
	v_and_b32_e32 v66, 0xff, v33
	v_lshlrev_b32_e32 v36, 3, v56
	v_mul_lo_u16 v34, v53, 3
	v_sub_nc_u16 v32, v8, v32
	v_and_b32_e32 v52, 0xffff, v52
	v_lshlrev_b32_e32 v56, 1, v56
	global_load_b64 v[87:88], v36, s[4:5]
	v_sub_nc_u16 v34, v6, v34
	v_and_b32_e32 v60, 0xff, v32
	v_lshlrev_b32_e32 v32, 3, v66
	v_mul_u32_u24_e32 v52, 18, v52
	v_and_b32_e32 v55, 0xffff, v55
	v_and_b32_e32 v63, 0xff, v34
	v_lshlrev_b32_e32 v33, 3, v60
	s_clause 0x1
	global_load_b64 v[89:90], v32, s[4:5]
	global_load_b64 v[92:93], v33, s[4:5]
	v_lshlrev_b32_e32 v34, 3, v63
	v_mul_u32_u24_e32 v32, 0xaaab, v35
	v_and_b32_e32 v33, 0xffff, v12
	v_add3_u32 v52, 0, v52, v56
	v_lshlrev_b32_e32 v66, 1, v66
	global_load_b64 v[99:100], v34, s[4:5]
	v_and_b32_e32 v34, 0xffff, v13
	v_lshrrev_b32_e32 v70, 17, v32
	v_mul_u32_u24_e32 v55, 18, v55
	v_and_b32_e32 v54, 0xffff, v54
	v_cmp_gt_u32_e64 s0, 18, v4
	v_mul_u32_u24_e32 v32, 0xaaab, v34
	v_mul_lo_u16 v36, v70, 3
	v_add3_u32 v55, 0, v55, v66
	v_sub_nc_u32_e32 v19, 0, v19
	s_delay_alu instid0(VALU_DEP_4) | instskip(NEXT) | instid1(VALU_DEP_4)
	v_lshrrev_b32_e32 v65, 17, v32
	v_sub_nc_u16 v32, v14, v36
	v_mul_u32_u24_e32 v36, 0xaaab, v33
	s_delay_alu instid0(VALU_DEP_3) | instskip(NEXT) | instid1(VALU_DEP_3)
	v_mul_lo_u16 v69, v65, 3
	v_and_b32_e32 v75, 0xffff, v32
	s_delay_alu instid0(VALU_DEP_3) | instskip(SKIP_1) | instid1(VALU_DEP_4)
	v_lshrrev_b32_e32 v68, 17, v36
	v_and_b32_e32 v32, 0xffff, v11
	v_sub_nc_u16 v36, v13, v69
	s_delay_alu instid0(VALU_DEP_4) | instskip(NEXT) | instid1(VALU_DEP_4)
	v_lshlrev_b32_e32 v69, 3, v75
	v_mul_lo_u16 v79, v68, 3
	s_delay_alu instid0(VALU_DEP_3) | instskip(SKIP_4) | instid1(VALU_DEP_2)
	v_and_b32_e32 v76, 0xffff, v36
	v_mul_u32_u24_e32 v36, 0xaaab, v32
	global_load_b64 v[101:102], v69, s[4:5]
	v_sub_nc_u16 v79, v12, v79
	v_lshlrev_b32_e32 v80, 3, v76
	v_and_b32_e32 v81, 0xffff, v79
	global_load_b64 v[103:104], v80, s[4:5]
	v_lshrrev_b32_e32 v69, 17, v36
	v_and_b32_e32 v36, 0xffff, v10
	v_lshlrev_b32_e32 v80, 3, v81
	s_delay_alu instid0(VALU_DEP_3) | instskip(NEXT) | instid1(VALU_DEP_3)
	v_mul_lo_u16 v79, v69, 3
	v_mul_u32_u24_e32 v82, 0xaaab, v36
	global_load_b64 v[105:106], v80, s[4:5]
	v_sub_nc_u16 v79, v11, v79
	s_delay_alu instid0(VALU_DEP_1) | instskip(SKIP_1) | instid1(VALU_DEP_2)
	v_and_b32_e32 v80, 0xffff, v79
	v_lshrrev_b32_e32 v79, 17, v82
	v_lshlrev_b32_e32 v82, 3, v80
	s_delay_alu instid0(VALU_DEP_2) | instskip(SKIP_2) | instid1(VALU_DEP_1)
	v_mul_lo_u16 v83, v79, 3
	global_load_b64 v[107:108], v82, s[4:5]
	v_sub_nc_u16 v82, v10, v83
	v_and_b32_e32 v82, 0xffff, v82
	s_delay_alu instid0(VALU_DEP_1)
	v_lshlrev_b32_e32 v83, 3, v82
	global_load_b64 v[109:110], v83, s[4:5]
	ds_load_u16 v95, v17 offset:2268
	ds_load_u16 v96, v17 offset:1134
	;; [unrolled: 1-line block ×15, first 2 shown]
	ds_load_u16 v84, v17
	s_wait_loadcnt 0x8
	v_lshrrev_b32_e32 v83, 16, v87
	v_lshrrev_b32_e32 v85, 16, v88
	s_wait_dscnt 0xe
	s_delay_alu instid0(VALU_DEP_2) | instskip(SKIP_1) | instid1(VALU_DEP_3)
	v_mul_f16_e32 v127, v96, v83
	v_mul_f16_e64 v128, v74, v83
	v_mul_f16_e64 v129, v95, v85
	;; [unrolled: 1-line block ×3, first 2 shown]
	s_wait_loadcnt 0x7
	v_lshrrev_b32_e32 v86, 16, v89
	s_wait_loadcnt 0x6
	v_lshrrev_b32_e32 v123, 16, v92
	v_lshrrev_b32_e32 v124, 16, v93
	;; [unrolled: 1-line block ×3, first 2 shown]
	v_fmac_f16_e32 v127, v74, v87
	s_wait_dscnt 0xd
	v_mul_f16_e32 v91, v97, v86
	v_mul_f16_e64 v131, v73, v86
	s_wait_loadcnt 0x5
	v_lshrrev_b32_e32 v125, 16, v99
	v_lshrrev_b32_e32 v126, 16, v100
	s_wait_dscnt 0xc
	v_mul_f16_e32 v85, v111, v123
	s_wait_dscnt 0x6
	v_mul_f16_e32 v86, v117, v124
	v_mul_f16_e32 v94, v116, v98
	;; [unrolled: 1-line block ×5, first 2 shown]
	v_fmac_f16_e32 v85, v72, v92
	v_fmac_f16_e32 v86, v64, v93
	v_mul_f16_e32 v64, v71, v125
	v_fmac_f16_e32 v83, v71, v99
	s_wait_dscnt 0x5
	v_mul_f16_e32 v71, v118, v126
	v_mul_f16_e64 v132, v77, v98
	v_fma_f16 v74, v96, v87, -v128
	v_fmac_f16_e32 v91, v73, v89
	v_fmac_f16_e32 v94, v77, v90
	v_fma_f16 v87, v112, v99, -v64
	v_mul_f16_e32 v64, v61, v126
	v_fmac_f16_e32 v71, v61, v100
	v_fma_f16 v128, v95, v88, -v130
	v_fma_f16 v96, v111, v92, -v123
	v_fma_f16 v92, v117, v93, -v124
	v_fmac_f16_e64 v129, v78, v88
	v_fma_f16 v98, v97, v89, -v131
	v_fma_f16 v88, v118, v100, -v64
	;; [unrolled: 1-line block ×3, first 2 shown]
	s_wait_loadcnt 0x4
	v_lshrrev_b32_e32 v72, 16, v101
	v_lshrrev_b32_e32 v77, 16, v102
	s_delay_alu instid0(VALU_DEP_2) | instskip(SKIP_2) | instid1(VALU_DEP_3)
	v_mul_f16_e32 v73, v113, v72
	v_mul_f16_e32 v61, v67, v72
	s_wait_dscnt 0x4
	v_mul_f16_e32 v89, v119, v77
	s_wait_loadcnt 0x3
	v_lshrrev_b32_e32 v64, 16, v103
	v_fmac_f16_e32 v73, v67, v101
	v_mul_f16_e32 v67, v58, v77
	v_fma_f16 v95, v113, v101, -v61
	v_lshrrev_b32_e32 v61, 16, v104
	v_fmac_f16_e32 v89, v58, v102
	v_mul_f16_e32 v58, v114, v64
	v_fma_f16 v93, v119, v102, -v67
	ds_load_u16 v67, v17 offset:3024
	s_wait_dscnt 0x4
	v_mul_f16_e32 v72, v120, v61
	v_mul_f16_e32 v61, v57, v61
	s_wait_loadcnt 0x2
	v_lshrrev_b32_e32 v77, 16, v105
	v_mul_f16_e32 v64, v62, v64
	v_fmac_f16_e32 v58, v62, v103
	v_fmac_f16_e32 v72, v57, v104
	v_fma_f16 v57, v120, v104, -v61
	ds_load_u16 v61, v17 offset:3150
	v_mul_f16_e32 v78, v115, v77
	v_fma_f16 v90, v114, v103, -v64
	v_lshrrev_b32_e32 v62, 16, v106
	v_mul_f16_e32 v64, v59, v77
	ds_load_u16 v77, v17 offset:3276
	ds_load_u16 v99, v27
	ds_load_u16 v100, v28
	;; [unrolled: 1-line block ×5, first 2 shown]
	v_fmac_f16_e32 v78, v59, v105
	v_add_f16_e32 v118, v38, v58
	s_wait_loadcnt 0x1
	v_lshrrev_b32_e32 v59, 16, v107
	v_fma_f16 v105, v115, v105, -v64
	v_lshrrev_b32_e32 v64, 16, v108
	s_wait_dscnt 0x7
	v_mul_f16_e32 v104, v67, v62
	v_mul_f16_e32 v62, v51, v62
	;; [unrolled: 1-line block ×3, first 2 shown]
	v_add_f16_e32 v119, v42, v78
	s_delay_alu instid0(VALU_DEP_4) | instskip(SKIP_1) | instid1(VALU_DEP_4)
	v_fmac_f16_e32 v104, v51, v106
	v_mul_f16_e32 v51, v50, v59
	v_fmac_f16_e32 v111, v50, v107
	s_wait_dscnt 0x6
	v_mul_f16_e32 v112, v61, v64
	v_fma_f16 v106, v67, v106, -v62
	v_add_f16_e32 v62, v83, v71
	v_fma_f16 v107, v121, v107, -v51
	v_mul_f16_e32 v51, v47, v64
	s_wait_loadcnt 0x0
	v_lshrrev_b32_e32 v50, 16, v109
	v_lshrrev_b32_e32 v59, 16, v110
	v_fmac_f16_e32 v112, v47, v108
	v_add_f16_e32 v64, v73, v89
	v_fma_f16 v108, v61, v108, -v51
	v_mul_f16_e32 v113, v122, v50
	v_mul_f16_e32 v47, v48, v50
	s_wait_dscnt 0x5
	v_mul_f16_e32 v114, v77, v59
	v_mul_f16_e32 v50, v49, v59
	v_add_f16_e32 v59, v46, v91
	v_fmac_f16_e32 v113, v48, v109
	v_fma_f16 v109, v122, v109, -v47
	v_add_f16_e64 v47, v127, v129
	v_fmac_f16_e32 v114, v49, v110
	v_fma_f16 v110, v77, v110, -v50
	v_add_f16_e32 v49, v45, v127
	v_add_f16_e32 v50, v84, v74
	v_fmac_f16_e32 v45, -0.5, v47
	v_sub_f16_e64 v47, v74, v128
	v_add_f16_e64 v48, v74, v128
	v_add_f16_e32 v77, v58, v72
	v_add_f16_e64 v115, v50, v128
	v_add_f16_e32 v50, v85, v86
	v_fmamk_f16 v51, v47, 0xbaee, v45
	v_fmac_f16_e32 v45, 0x3aee, v47
	v_add_f16_e32 v47, v91, v94
	v_fmac_f16_e32 v84, -0.5, v48
	v_add_f16_e64 v48, v49, v129
	v_sub_f16_e64 v49, v127, v129
	v_add_f16_e32 v61, v44, v85
	v_fmac_f16_e32 v46, -0.5, v47
	v_sub_f16_e32 v47, v98, v97
	v_fmac_f16_e32 v44, -0.5, v50
	v_sub_f16_e32 v50, v96, v92
	v_add_f16_e32 v67, v43, v83
	v_fmac_f16_e32 v43, -0.5, v62
	v_sub_f16_e32 v62, v87, v88
	v_add_f16_e32 v74, v40, v73
	;; [unrolled: 3-line block ×3, first 2 shown]
	v_fmac_f16_e32 v38, -0.5, v77
	v_sub_f16_e32 v77, v90, v57
	v_fmamk_f16 v116, v49, 0x3aee, v84
	v_fmac_f16_e32 v84, 0xbaee, v49
	v_fmamk_f16 v49, v47, 0xbaee, v46
	v_fmac_f16_e32 v46, 0x3aee, v47
	;; [unrolled: 2-line block ×4, first 2 shown]
	v_fmamk_f16 v62, v64, 0xbaee, v40
	v_fmac_f16_e32 v42, -0.5, v117
	v_sub_f16_e32 v117, v105, v106
	v_fmac_f16_e32 v40, 0x3aee, v64
	v_fmamk_f16 v64, v77, 0xbaee, v38
	v_fmac_f16_e32 v38, 0x3aee, v77
	v_add_f16_e32 v77, v111, v112
	v_add_f16_e32 v121, v113, v114
	v_fmamk_f16 v120, v117, 0xbaee, v42
	v_fmac_f16_e32 v42, 0x3aee, v117
	v_add_f16_e32 v117, v41, v111
	v_fmac_f16_e32 v41, -0.5, v77
	v_sub_f16_e32 v77, v107, v108
	v_add_f16_e32 v122, v39, v113
	v_fmac_f16_e32 v39, -0.5, v121
	v_sub_f16_e32 v121, v109, v110
	v_add_f16_e32 v59, v59, v94
	v_fmamk_f16 v123, v77, 0xbaee, v41
	v_fmac_f16_e32 v41, 0x3aee, v77
	v_sub_f16_e32 v58, v58, v72
	v_fmamk_f16 v77, v121, 0xbaee, v39
	v_fmac_f16_e32 v39, 0x3aee, v121
	ds_load_u16 v56, v24
	ds_load_u16 v121, v25
	;; [unrolled: 1-line block ×3, first 2 shown]
	global_wb scope:SCOPE_SE
	s_wait_dscnt 0x0
	s_barrier_signal -1
	s_barrier_wait -1
	global_inv scope:SCOPE_SE
	ds_store_b16 v52, v48
	ds_store_b16 v52, v51 offset:6
	ds_store_b16 v52, v45 offset:12
	v_lshlrev_b32_e32 v45, 1, v60
	v_mul_u32_u24_e32 v48, 18, v54
	v_and_b32_e32 v51, 0xffff, v53
	ds_store_b16 v55, v59
	ds_store_b16 v55, v49 offset:6
	ds_store_b16 v55, v46 offset:12
	v_lshlrev_b32_e32 v46, 1, v63
	v_lshlrev_b32_e32 v49, 1, v75
	v_add3_u32 v53, 0, v48, v45
	v_add_f16_e32 v45, v61, v86
	v_mul_u32_u24_e32 v48, 18, v51
	ds_store_b16 v53, v45
	ds_store_b16 v53, v47 offset:6
	ds_store_b16 v53, v44 offset:12
	v_add3_u32 v54, 0, v48, v46
	v_add_f16_e32 v44, v67, v71
	v_mul_u32_u24_e32 v51, 18, v70
	v_lshlrev_b32_e32 v45, 1, v76
	v_mul_u32_u24_e32 v46, 18, v65
	ds_store_b16 v54, v44
	ds_store_b16 v54, v50 offset:6
	ds_store_b16 v54, v43 offset:12
	v_lshlrev_b32_e32 v43, 1, v81
	v_mul_u32_u24_e32 v44, 18, v68
	v_add3_u32 v125, 0, v51, v49
	v_add_f16_e32 v47, v74, v89
	v_add3_u32 v76, 0, v46, v45
	v_add_f16_e32 v45, v118, v72
	v_add3_u32 v68, 0, v44, v43
	v_lshlrev_b32_e32 v43, 1, v80
	v_mul_u32_u24_e32 v44, 18, v69
	ds_store_b16 v125, v47
	ds_store_b16 v125, v62 offset:6
	ds_store_b16 v125, v40 offset:12
	v_add_f16_e32 v40, v119, v104
	v_lshlrev_b32_e32 v46, 1, v82
	v_mul_u32_u24_e32 v47, 18, v79
	v_add_f16_e32 v80, v98, v97
	ds_store_b16 v76, v45
	ds_store_b16 v76, v64 offset:6
	ds_store_b16 v76, v38 offset:12
	v_add3_u32 v69, 0, v44, v43
	v_add_f16_e32 v38, v117, v112
	v_add_f16_e32 v43, v122, v114
	v_add3_u32 v79, 0, v47, v46
	ds_store_b16 v68, v40
	ds_store_b16 v68, v120 offset:6
	ds_store_b16 v68, v42 offset:12
	ds_store_b16 v69, v38
	ds_store_b16 v69, v123 offset:6
	ds_store_b16 v69, v41 offset:12
	;; [unrolled: 3-line block ×3, first 2 shown]
	global_wb scope:SCOPE_SE
	s_wait_dscnt 0x0
	s_barrier_signal -1
	s_barrier_wait -1
	global_inv scope:SCOPE_SE
	ds_load_u16 v43, v27
	ds_load_u16 v42, v28
	ds_load_u16 v38, v29
	ds_load_u16 v65, v17 offset:2520
	ds_load_u16 v63, v17 offset:2646
	;; [unrolled: 1-line block ×4, first 2 shown]
	ds_load_u16 v45, v17
	ds_load_u16 v75, v17 offset:1134
	ds_load_u16 v70, v17 offset:1260
	;; [unrolled: 1-line block ×10, first 2 shown]
	ds_load_u16 v41, v24
	ds_load_u16 v40, v25
	;; [unrolled: 1-line block ×3, first 2 shown]
	ds_load_u16 v74, v17 offset:2394
	ds_load_u16 v77, v17 offset:2268
	;; [unrolled: 1-line block ×3, first 2 shown]
	ds_load_u16 v44, v23
	ds_load_u16 v46, v22
	ds_load_u16 v49, v17 offset:3276
	global_wb scope:SCOPE_SE
	s_wait_dscnt 0x0
	s_barrier_signal -1
	s_barrier_wait -1
	global_inv scope:SCOPE_SE
	v_add_f16_e32 v81, v103, v98
	v_fmac_f16_e32 v103, -0.5, v80
	v_sub_f16_e32 v80, v91, v94
	ds_store_b16 v52, v115
	ds_store_b16 v52, v116 offset:6
	ds_store_b16 v52, v84 offset:12
	v_add_f16_e32 v52, v96, v92
	v_add_f16_e32 v81, v81, v97
	v_sub_f16_e32 v71, v83, v71
	v_fmamk_f16 v82, v80, 0x3aee, v103
	v_fmac_f16_e32 v103, 0xbaee, v80
	v_add_f16_e32 v80, v102, v96
	v_fmac_f16_e32 v102, -0.5, v52
	v_sub_f16_e32 v52, v85, v86
	ds_store_b16 v55, v81
	ds_store_b16 v55, v82 offset:6
	ds_store_b16 v55, v103 offset:12
	v_add_f16_e32 v82, v99, v87
	v_add_f16_e32 v55, v80, v92
	v_add_f16_e32 v80, v87, v88
	v_fmamk_f16 v81, v52, 0x3aee, v102
	v_fmac_f16_e32 v102, 0xbaee, v52
	v_add_f16_e32 v52, v95, v93
	v_add_f16_e32 v84, v101, v90
	v_fmac_f16_e32 v99, -0.5, v80
	v_add_f16_e32 v80, v100, v95
	v_add_f16_e32 v72, v56, v105
	v_fmac_f16_e32 v100, -0.5, v52
	v_sub_f16_e32 v52, v73, v89
	v_add_f16_e32 v73, v82, v88
	v_fmamk_f16 v82, v71, 0x3aee, v99
	v_fmac_f16_e32 v99, 0xbaee, v71
	v_add_f16_e32 v71, v80, v93
	v_add_f16_e32 v80, v90, v57
	v_fmamk_f16 v83, v52, 0x3aee, v100
	v_fmac_f16_e32 v100, 0xbaee, v52
	v_add_f16_e32 v52, v105, v106
	v_add_f16_e32 v57, v84, v57
	v_fmac_f16_e32 v101, -0.5, v80
	v_add_f16_e32 v84, v121, v107
	v_add_f16_e32 v85, v124, v109
	v_fmac_f16_e32 v56, -0.5, v52
	v_sub_f16_e32 v52, v78, v104
	v_fmamk_f16 v78, v58, 0x3aee, v101
	v_fmac_f16_e32 v101, 0xbaee, v58
	v_add_f16_e32 v58, v72, v106
	v_add_f16_e32 v72, v107, v108
	v_fmamk_f16 v80, v52, 0x3aee, v56
	v_fmac_f16_e32 v56, 0xbaee, v52
	v_add_f16_e32 v52, v109, v110
	v_mul_lo_u16 v87, v37, 57
	v_fmac_f16_e32 v121, -0.5, v72
	v_sub_f16_e32 v72, v111, v112
	ds_store_b16 v53, v55
	ds_store_b16 v53, v81 offset:6
	ds_store_b16 v53, v102 offset:12
	ds_store_b16 v54, v73
	ds_store_b16 v54, v82 offset:6
	ds_store_b16 v54, v99 offset:12
	v_fmac_f16_e32 v124, -0.5, v52
	v_sub_f16_e32 v52, v113, v114
	ds_store_b16 v125, v71
	ds_store_b16 v125, v83 offset:6
	ds_store_b16 v125, v100 offset:12
	ds_store_b16 v76, v57
	ds_store_b16 v76, v78 offset:6
	ds_store_b16 v76, v101 offset:12
	v_fmamk_f16 v86, v72, 0x3aee, v121
	v_fmac_f16_e32 v121, 0xbaee, v72
	v_add_f16_e32 v72, v85, v110
	v_fmamk_f16 v85, v52, 0x3aee, v124
	v_fmac_f16_e32 v124, 0xbaee, v52
	v_lshrrev_b16 v52, 9, v87
	v_mul_lo_u16 v57, v30, 57
	v_add_f16_e32 v84, v84, v108
	ds_store_b16 v68, v58
	ds_store_b16 v68, v80 offset:6
	ds_store_b16 v68, v56 offset:12
	ds_store_b16 v69, v84
	ds_store_b16 v69, v86 offset:6
	ds_store_b16 v69, v121 offset:12
	v_mul_lo_u16 v53, v52, 9
	ds_store_b16 v79, v72
	ds_store_b16 v79, v85 offset:6
	ds_store_b16 v79, v124 offset:12
	global_wb scope:SCOPE_SE
	s_wait_dscnt 0x0
	s_barrier_signal -1
	s_barrier_wait -1
	v_sub_nc_u16 v54, v4, v53
	v_mul_lo_u16 v53, v3, 57
	global_inv scope:SCOPE_SE
	v_mul_u32_u24_e32 v82, 0xe38f, v36
	v_and_b32_e32 v52, 0xffff, v52
	v_and_b32_e32 v55, 0xff, v54
	v_lshrrev_b16 v53, 9, v53
	v_mul_lo_u16 v37, v37, 19
	v_mul_lo_u16 v3, v3, 19
	v_mul_u32_u24_e32 v52, 54, v52
	v_lshlrev_b32_e32 v56, 3, v55
	v_mul_lo_u16 v54, v53, 9
	v_lshlrev_b32_e32 v55, 1, v55
	v_lshrrev_b16 v37, 9, v37
	v_lshrrev_b16 v3, 9, v3
	global_load_b64 v[84:85], v56, s[4:5] offset:24
	v_sub_nc_u16 v58, v7, v54
	v_lshrrev_b16 v54, 9, v57
	s_delay_alu instid0(VALU_DEP_2) | instskip(NEXT) | instid1(VALU_DEP_2)
	v_and_b32_e32 v56, 0xff, v58
	v_mul_lo_u16 v57, v54, 9
	v_mul_lo_u16 v58, v31, 57
	v_and_b32_e32 v54, 0xffff, v54
	s_delay_alu instid0(VALU_DEP_4) | instskip(NEXT) | instid1(VALU_DEP_4)
	v_lshlrev_b32_e32 v68, 3, v56
	v_sub_nc_u16 v69, v8, v57
	s_delay_alu instid0(VALU_DEP_4) | instskip(SKIP_3) | instid1(VALU_DEP_2)
	v_lshrrev_b16 v57, 9, v58
	global_load_b64 v[86:87], v68, s[4:5] offset:24
	v_and_b32_e32 v58, 0xff, v69
	v_mul_u32_u24_e32 v69, 0xe38f, v35
	v_lshlrev_b32_e32 v71, 3, v58
	s_delay_alu instid0(VALU_DEP_2) | instskip(SKIP_3) | instid1(VALU_DEP_2)
	v_lshrrev_b32_e32 v69, 19, v69
	global_load_b64 v[90:91], v71, s[4:5] offset:24
	v_mul_lo_u16 v68, v57, 9
	v_mul_lo_u16 v71, v69, 9
	v_sub_nc_u16 v68, v6, v68
	s_delay_alu instid0(VALU_DEP_2) | instskip(NEXT) | instid1(VALU_DEP_2)
	v_sub_nc_u16 v71, v14, v71
	v_and_b32_e32 v73, 0xff, v68
	v_mul_u32_u24_e32 v68, 0xe38f, v34
	s_delay_alu instid0(VALU_DEP_3) | instskip(NEXT) | instid1(VALU_DEP_3)
	v_and_b32_e32 v79, 0xffff, v71
	v_lshlrev_b32_e32 v72, 3, v73
	s_delay_alu instid0(VALU_DEP_3) | instskip(SKIP_2) | instid1(VALU_DEP_1)
	v_lshrrev_b32_e32 v68, 19, v68
	global_load_b64 v[92:93], v72, s[4:5] offset:24
	v_mul_lo_u16 v76, v68, 9
	v_sub_nc_u16 v71, v13, v76
	v_lshlrev_b32_e32 v76, 3, v79
	s_delay_alu instid0(VALU_DEP_2) | instskip(SKIP_3) | instid1(VALU_DEP_2)
	v_and_b32_e32 v78, 0xffff, v71
	global_load_b64 v[99:100], v76, s[4:5] offset:24
	v_mul_u32_u24_e32 v72, 0xe38f, v33
	v_mul_u32_u24_e32 v71, 0xe38f, v32
	v_lshrrev_b32_e32 v72, 19, v72
	s_delay_alu instid0(VALU_DEP_2) | instskip(NEXT) | instid1(VALU_DEP_2)
	v_lshrrev_b32_e32 v71, 19, v71
	v_mul_lo_u16 v80, v72, 9
	s_delay_alu instid0(VALU_DEP_1) | instskip(SKIP_1) | instid1(VALU_DEP_2)
	v_sub_nc_u16 v76, v12, v80
	v_lshlrev_b32_e32 v80, 3, v78
	v_and_b32_e32 v76, 0xffff, v76
	global_load_b64 v[101:102], v80, s[4:5] offset:24
	v_lshlrev_b32_e32 v81, 3, v76
	global_load_b64 v[103:104], v81, s[4:5] offset:24
	v_mul_lo_u16 v80, v71, 9
	s_delay_alu instid0(VALU_DEP_1) | instskip(NEXT) | instid1(VALU_DEP_1)
	v_sub_nc_u16 v80, v11, v80
	v_and_b32_e32 v81, 0xffff, v80
	v_lshrrev_b32_e32 v80, 19, v82
	s_delay_alu instid0(VALU_DEP_2) | instskip(NEXT) | instid1(VALU_DEP_2)
	v_lshlrev_b32_e32 v82, 3, v81
	v_mul_lo_u16 v83, v80, 9
	global_load_b64 v[105:106], v82, s[4:5] offset:24
	v_sub_nc_u16 v82, v10, v83
	s_delay_alu instid0(VALU_DEP_1) | instskip(NEXT) | instid1(VALU_DEP_1)
	v_and_b32_e32 v82, 0xffff, v82
	v_lshlrev_b32_e32 v83, 3, v82
	global_load_b64 v[107:108], v83, s[4:5] offset:24
	ds_load_u16 v88, v17 offset:1134
	ds_load_u16 v89, v17 offset:2268
	;; [unrolled: 1-line block ×8, first 2 shown]
	ds_load_u16 v83, v17
	ds_load_u16 v98, v17 offset:2394
	ds_load_u16 v115, v17 offset:2520
	;; [unrolled: 1-line block ×7, first 2 shown]
	s_wait_loadcnt 0x8
	v_lshrrev_b32_e32 v94, 16, v84
	v_lshrrev_b32_e32 v113, 16, v85
	s_wait_dscnt 0xf
	s_delay_alu instid0(VALU_DEP_2)
	v_mul_f16_e32 v112, v88, v94
	v_mul_f16_e32 v94, v75, v94
	s_wait_dscnt 0xe
	v_mul_f16_e32 v121, v89, v113
	v_mul_f16_e32 v113, v77, v113
	v_fmac_f16_e32 v112, v75, v84
	v_fma_f16 v122, v88, v84, -v94
	s_delay_alu instid0(VALU_DEP_4) | instskip(NEXT) | instid1(VALU_DEP_4)
	v_fmac_f16_e32 v121, v77, v85
	v_fma_f16 v113, v89, v85, -v113
	s_wait_loadcnt 0x7
	v_lshrrev_b32_e32 v114, 16, v86
	v_lshrrev_b32_e32 v84, 16, v87
	s_wait_dscnt 0xd
	s_delay_alu instid0(VALU_DEP_2) | instskip(SKIP_3) | instid1(VALU_DEP_3)
	v_mul_f16_e32 v75, v95, v114
	v_mul_f16_e32 v85, v70, v114
	s_wait_dscnt 0x6
	v_mul_f16_e32 v77, v98, v84
	v_fmac_f16_e32 v75, v70, v86
	s_wait_loadcnt 0x6
	v_lshrrev_b32_e32 v88, 16, v90
	v_mul_f16_e32 v70, v74, v84
	v_fma_f16 v89, v95, v86, -v85
	v_fmac_f16_e32 v77, v74, v87
	v_lshrrev_b32_e32 v74, 16, v91
	v_mul_f16_e32 v85, v96, v88
	v_fma_f16 v86, v98, v87, -v70
	v_mul_f16_e32 v70, v67, v88
	s_wait_dscnt 0x5
	v_mul_f16_e32 v94, v115, v74
	v_fmac_f16_e32 v85, v67, v90
	v_mul_f16_e32 v84, v65, v74
	v_fma_f16 v98, v96, v90, -v70
	s_delay_alu instid0(VALU_DEP_4) | instskip(NEXT) | instid1(VALU_DEP_3)
	v_fmac_f16_e32 v94, v65, v91
	v_fma_f16 v96, v115, v91, -v84
	s_wait_loadcnt 0x5
	v_lshrrev_b32_e32 v67, 16, v92
	v_lshrrev_b32_e32 v70, 16, v93
	s_delay_alu instid0(VALU_DEP_2) | instskip(SKIP_2) | instid1(VALU_DEP_3)
	v_mul_f16_e32 v74, v97, v67
	v_mul_f16_e32 v65, v66, v67
	s_wait_dscnt 0x4
	v_mul_f16_e32 v84, v116, v70
	s_delay_alu instid0(VALU_DEP_3) | instskip(NEXT) | instid1(VALU_DEP_3)
	v_fmac_f16_e32 v74, v66, v92
	v_fma_f16 v90, v97, v92, -v65
	s_wait_loadcnt 0x4
	v_lshrrev_b32_e32 v66, 16, v99
	v_mul_f16_e32 v65, v63, v70
	v_lshrrev_b32_e32 v67, 16, v100
	v_fmac_f16_e32 v84, v63, v93
	s_delay_alu instid0(VALU_DEP_4)
	v_mul_f16_e32 v87, v109, v66
	v_mul_f16_e32 v63, v64, v66
	v_fma_f16 v91, v116, v93, -v65
	s_wait_dscnt 0x3
	v_mul_f16_e32 v93, v117, v67
	v_fmac_f16_e32 v87, v64, v99
	v_mul_f16_e32 v64, v61, v67
	v_fma_f16 v99, v109, v99, -v63
	s_delay_alu instid0(VALU_DEP_4) | instskip(NEXT) | instid1(VALU_DEP_3)
	v_fmac_f16_e32 v93, v61, v100
	v_fma_f16 v97, v117, v100, -v64
	s_wait_loadcnt 0x3
	v_lshrrev_b32_e32 v65, 16, v101
	v_lshrrev_b32_e32 v63, 16, v102
	s_delay_alu instid0(VALU_DEP_2)
	v_mul_f16_e32 v61, v110, v65
	v_mul_f16_e32 v64, v62, v65
	ds_load_u16 v65, v17 offset:3024
	s_wait_dscnt 0x3
	v_mul_f16_e32 v66, v118, v63
	s_wait_loadcnt 0x2
	v_lshrrev_b32_e32 v67, 16, v103
	v_mul_f16_e32 v63, v59, v63
	v_fmac_f16_e32 v61, v62, v101
	v_lshrrev_b32_e32 v62, 16, v104
	v_fmac_f16_e32 v66, v59, v102
	ds_load_u16 v59, v17 offset:3150
	v_mul_f16_e32 v88, v111, v67
	v_fma_f16 v92, v118, v102, -v63
	v_mul_f16_e32 v63, v60, v67
	v_fma_f16 v95, v110, v101, -v64
	ds_load_u16 v64, v17 offset:3276
	ds_load_u16 v100, v27
	ds_load_u16 v101, v28
	;; [unrolled: 1-line block ×5, first 2 shown]
	v_fmac_f16_e32 v88, v60, v103
	v_add_f16_e32 v67, v61, v66
	v_fma_f16 v103, v111, v103, -v63
	v_add_f16_e32 v118, v38, v61
	v_sub_f16_e32 v61, v61, v66
	s_delay_alu instid0(VALU_DEP_4)
	v_fmac_f16_e32 v38, -0.5, v67
	s_wait_dscnt 0x7
	v_mul_f16_e32 v114, v65, v62
	v_mul_f16_e32 v62, v51, v62
	v_sub_f16_e32 v67, v95, v92
	s_wait_loadcnt 0x1
	v_lshrrev_b32_e32 v60, 16, v105
	v_lshrrev_b32_e32 v63, 16, v106
	v_fmac_f16_e32 v114, v51, v104
	v_fma_f16 v104, v65, v104, -v62
	v_add_f16_e32 v62, v74, v84
	v_mul_f16_e32 v111, v119, v60
	v_mul_f16_e32 v51, v50, v60
	s_wait_dscnt 0x6
	v_mul_f16_e32 v115, v59, v63
	v_add_f16_e32 v65, v42, v87
	v_add_f16_e32 v70, v88, v114
	v_fmac_f16_e32 v111, v50, v105
	v_fma_f16 v105, v119, v105, -v51
	v_mul_f16_e32 v51, v47, v63
	v_fmac_f16_e32 v115, v47, v106
	v_add_f16_e32 v63, v87, v93
	v_add_f16_e32 v119, v41, v88
	s_wait_loadcnt 0x0
	v_lshrrev_b32_e32 v50, 16, v107
	v_lshrrev_b32_e32 v60, 16, v108
	v_fma_f16 v106, v59, v106, -v51
	v_add_f16_e32 v59, v46, v75
	v_fmac_f16_e32 v42, -0.5, v63
	v_mul_f16_e32 v116, v120, v50
	v_mul_f16_e32 v47, v48, v50
	s_wait_dscnt 0x5
	v_mul_f16_e32 v117, v64, v60
	v_mul_f16_e32 v50, v49, v60
	v_add_f16_e32 v60, v44, v85
	v_fmac_f16_e32 v116, v48, v107
	v_fma_f16 v107, v120, v107, -v47
	v_add_f16_e32 v47, v112, v121
	v_fmac_f16_e32 v117, v49, v108
	v_fma_f16 v108, v64, v108, -v50
	v_add_f16_e32 v48, v122, v113
	v_add_f16_e32 v49, v45, v112
	v_fmac_f16_e32 v45, -0.5, v47
	v_sub_f16_e32 v47, v122, v113
	v_add_f16_e32 v50, v83, v122
	v_fmac_f16_e32 v83, -0.5, v48
	v_add_f16_e32 v48, v49, v121
	v_sub_f16_e32 v49, v112, v121
	v_fmamk_f16 v51, v47, 0xbaee, v45
	v_fmac_f16_e32 v45, 0x3aee, v47
	v_add_f16_e32 v47, v75, v77
	v_add_f16_e32 v112, v50, v113
	;; [unrolled: 1-line block ×4, first 2 shown]
	v_fmac_f16_e32 v43, -0.5, v62
	v_fmac_f16_e32 v46, -0.5, v47
	v_sub_f16_e32 v47, v89, v86
	v_fmac_f16_e32 v44, -0.5, v50
	v_sub_f16_e32 v50, v98, v96
	v_sub_f16_e32 v62, v90, v91
	;; [unrolled: 1-line block ×3, first 2 shown]
	v_fmamk_f16 v113, v49, 0x3aee, v83
	v_fmac_f16_e32 v83, 0xbaee, v49
	v_fmamk_f16 v49, v47, 0xbaee, v46
	v_fmac_f16_e32 v46, 0x3aee, v47
	v_fmamk_f16 v47, v50, 0xbaee, v44
	v_fmac_f16_e32 v44, 0x3aee, v50
	v_fmamk_f16 v50, v62, 0xbaee, v43
	v_fmac_f16_e32 v43, 0x3aee, v62
	v_fmamk_f16 v62, v63, 0xbaee, v42
	v_fmac_f16_e32 v41, -0.5, v70
	v_sub_f16_e32 v70, v103, v104
	v_fmac_f16_e32 v42, 0x3aee, v63
	v_fmamk_f16 v63, v67, 0xbaee, v38
	v_fmac_f16_e32 v38, 0x3aee, v67
	v_add_f16_e32 v67, v111, v115
	v_add_f16_e32 v121, v116, v117
	v_fmamk_f16 v120, v70, 0xbaee, v41
	v_fmac_f16_e32 v41, 0x3aee, v70
	v_add_f16_e32 v70, v40, v111
	v_fmac_f16_e32 v40, -0.5, v67
	v_sub_f16_e32 v67, v105, v106
	v_add_f16_e32 v122, v39, v116
	v_fmac_f16_e32 v39, -0.5, v121
	v_sub_f16_e32 v121, v107, v108
	v_sub_f16_e32 v75, v75, v77
	v_fmamk_f16 v123, v67, 0xbaee, v40
	v_fmac_f16_e32 v40, 0x3aee, v67
	v_sub_f16_e32 v74, v74, v84
	v_fmamk_f16 v67, v121, 0xbaee, v39
	v_fmac_f16_e32 v39, 0x3aee, v121
	v_add3_u32 v121, 0, v52, v55
	v_and_b32_e32 v52, 0xffff, v53
	v_lshlrev_b32_e32 v55, 1, v56
	ds_load_u16 v53, v24
	ds_load_u16 v124, v25
	;; [unrolled: 1-line block ×3, first 2 shown]
	global_wb scope:SCOPE_SE
	s_wait_dscnt 0x0
	s_barrier_signal -1
	v_mul_u32_u24_e32 v52, 54, v52
	s_barrier_wait -1
	global_inv scope:SCOPE_SE
	ds_store_b16 v121, v48
	ds_store_b16 v121, v51 offset:18
	ds_store_b16 v121, v45 offset:36
	v_lshlrev_b32_e32 v45, 1, v58
	v_add3_u32 v56, 0, v52, v55
	v_add_f16_e32 v52, v59, v77
	v_mul_u32_u24_e32 v48, 54, v54
	v_and_b32_e32 v51, 0xffff, v57
	ds_store_b16 v56, v52
	ds_store_b16 v56, v49 offset:18
	ds_store_b16 v56, v46 offset:36
	v_add3_u32 v54, 0, v48, v45
	v_add_f16_e32 v45, v60, v94
	v_lshlrev_b32_e32 v46, 1, v73
	v_mul_u32_u24_e32 v48, 54, v51
	v_lshlrev_b32_e32 v49, 1, v79
	v_mul_u32_u24_e32 v51, 54, v69
	ds_store_b16 v54, v45
	ds_store_b16 v54, v47 offset:18
	ds_store_b16 v54, v44 offset:36
	v_add_f16_e32 v44, v64, v84
	v_add3_u32 v69, 0, v48, v46
	v_add_f16_e32 v47, v65, v93
	v_add3_u32 v73, 0, v51, v49
	ds_store_b16 v69, v44
	ds_store_b16 v69, v50 offset:18
	ds_store_b16 v69, v43 offset:36
	v_lshlrev_b32_e32 v43, 1, v76
	v_mul_u32_u24_e32 v44, 54, v72
	v_add_f16_e32 v79, v89, v86
	ds_store_b16 v73, v47
	ds_store_b16 v73, v62 offset:18
	ds_store_b16 v73, v42 offset:36
	v_mul_u32_u24_e32 v47, 54, v80
	v_add_f16_e32 v80, v98, v96
	v_lshlrev_b32_e32 v45, 1, v78
	v_mul_u32_u24_e32 v46, 54, v68
	v_add3_u32 v72, 0, v44, v43
	v_lshlrev_b32_e32 v43, 1, v81
	v_add_f16_e32 v81, v110, v89
	v_fmac_f16_e32 v110, -0.5, v79
	v_add_f16_e32 v77, v109, v98
	v_fmac_f16_e32 v109, -0.5, v80
	v_sub_f16_e32 v79, v85, v94
	v_add3_u32 v78, 0, v46, v45
	v_add_f16_e32 v45, v118, v66
	v_mul_u32_u24_e32 v44, 54, v71
	v_add_f16_e32 v42, v119, v114
	v_lshlrev_b32_e32 v46, 1, v82
	v_add_f16_e32 v80, v81, v86
	v_fmamk_f16 v81, v75, 0x3aee, v110
	v_fmac_f16_e32 v110, 0xbaee, v75
	v_add_f16_e32 v75, v77, v96
	v_add_f16_e32 v77, v90, v91
	v_fmamk_f16 v82, v79, 0x3aee, v109
	v_fmac_f16_e32 v109, 0xbaee, v79
	v_add_f16_e32 v79, v99, v97
	ds_store_b16 v78, v45
	ds_store_b16 v78, v63 offset:18
	ds_store_b16 v78, v38 offset:36
	v_add3_u32 v71, 0, v44, v43
	v_add_f16_e32 v38, v70, v115
	v_add_f16_e32 v43, v122, v117
	v_add3_u32 v76, 0, v47, v46
	ds_store_b16 v72, v42
	ds_store_b16 v72, v120 offset:18
	ds_store_b16 v72, v41 offset:36
	ds_store_b16 v71, v38
	ds_store_b16 v71, v123 offset:18
	ds_store_b16 v71, v40 offset:36
	;; [unrolled: 3-line block ×3, first 2 shown]
	global_wb scope:SCOPE_SE
	s_wait_dscnt 0x0
	s_barrier_signal -1
	s_barrier_wait -1
	global_inv scope:SCOPE_SE
	ds_load_u16 v43, v27
	ds_load_u16 v42, v28
	;; [unrolled: 1-line block ×3, first 2 shown]
	ds_load_u16 v62, v17 offset:2520
	ds_load_u16 v59, v17 offset:2646
	;; [unrolled: 1-line block ×4, first 2 shown]
	ds_load_u16 v46, v17
	ds_load_u16 v67, v17 offset:1134
	ds_load_u16 v65, v17 offset:1260
	;; [unrolled: 1-line block ×10, first 2 shown]
	ds_load_u16 v41, v24
	ds_load_u16 v40, v25
	ds_load_u16 v39, v26
	ds_load_u16 v68, v17 offset:2394
	ds_load_u16 v70, v17 offset:2268
	;; [unrolled: 1-line block ×3, first 2 shown]
	ds_load_u16 v44, v23
	ds_load_u16 v45, v22
	ds_load_u16 v49, v17 offset:3276
	global_wb scope:SCOPE_SE
	s_wait_dscnt 0x0
	s_barrier_signal -1
	s_barrier_wait -1
	global_inv scope:SCOPE_SE
	ds_store_b16 v121, v112
	ds_store_b16 v121, v113 offset:18
	ds_store_b16 v121, v83 offset:36
	v_add_f16_e32 v83, v100, v90
	v_fmac_f16_e32 v100, -0.5, v77
	v_add_f16_e32 v77, v101, v99
	v_fmac_f16_e32 v101, -0.5, v79
	v_sub_f16_e32 v79, v87, v93
	v_add_f16_e32 v86, v102, v95
	v_fmamk_f16 v84, v74, 0x3aee, v100
	v_fmac_f16_e32 v100, 0xbaee, v74
	v_add_f16_e32 v74, v77, v97
	v_add_f16_e32 v77, v95, v92
	v_fmamk_f16 v85, v79, 0x3aee, v101
	v_fmac_f16_e32 v101, 0xbaee, v79
	v_add_f16_e32 v79, v103, v104
	v_add_f16_e32 v66, v53, v103
	v_fmac_f16_e32 v102, -0.5, v77
	v_sub_f16_e32 v77, v88, v114
	v_add_f16_e32 v83, v83, v91
	v_fmac_f16_e32 v53, -0.5, v79
	v_add_f16_e32 v79, v86, v92
	v_fmamk_f16 v86, v61, 0x3aee, v102
	v_fmac_f16_e32 v102, 0xbaee, v61
	v_add_f16_e32 v61, v66, v104
	v_add_f16_e32 v66, v105, v106
	v_fmamk_f16 v87, v77, 0x3aee, v53
	v_fmac_f16_e32 v53, 0xbaee, v77
	v_add_f16_e32 v77, v107, v108
	v_add_f16_e32 v88, v124, v105
	v_fmac_f16_e32 v124, -0.5, v66
	v_sub_f16_e32 v66, v111, v115
	v_add_f16_e32 v89, v125, v107
	ds_store_b16 v56, v80
	ds_store_b16 v56, v81 offset:18
	ds_store_b16 v56, v110 offset:36
	ds_store_b16 v54, v75
	ds_store_b16 v54, v82 offset:18
	ds_store_b16 v54, v109 offset:36
	;; [unrolled: 3-line block ×3, first 2 shown]
	v_mul_lo_u16 v54, v37, 27
	v_mul_lo_u16 v56, v3, 27
	v_fmac_f16_e32 v125, -0.5, v77
	v_sub_f16_e32 v77, v116, v117
	v_add_f16_e32 v88, v88, v106
	v_fmamk_f16 v90, v66, 0x3aee, v124
	v_fmac_f16_e32 v124, 0xbaee, v66
	v_add_f16_e32 v66, v89, v108
	v_sub_nc_u16 v54, v4, v54
	v_sub_nc_u16 v56, v7, v56
	v_fmamk_f16 v89, v77, 0x3aee, v125
	v_fmac_f16_e32 v125, 0xbaee, v77
	ds_store_b16 v73, v74
	ds_store_b16 v73, v85 offset:18
	ds_store_b16 v73, v101 offset:36
	ds_store_b16 v78, v79
	ds_store_b16 v78, v86 offset:18
	ds_store_b16 v78, v102 offset:36
	;; [unrolled: 3-line block ×4, first 2 shown]
	v_and_b32_e32 v53, 0xff, v54
	ds_store_b16 v76, v66
	ds_store_b16 v76, v89 offset:18
	ds_store_b16 v76, v125 offset:36
	v_mul_u32_u24_e32 v66, 0x2f69, v35
	v_and_b32_e32 v56, 0xff, v56
	v_mul_lo_u16 v54, v30, 19
	v_lshlrev_b32_e32 v61, 3, v53
	global_wb scope:SCOPE_SE
	s_wait_dscnt 0x0
	v_lshrrev_b32_e32 v66, 16, v66
	v_lshlrev_b32_e32 v72, 3, v56
	s_barrier_signal -1
	s_barrier_wait -1
	global_inv scope:SCOPE_SE
	s_clause 0x1
	global_load_b64 v[82:83], v61, s[4:5] offset:96
	global_load_b64 v[84:85], v72, s[4:5] offset:96
	v_lshrrev_b16 v54, 9, v54
	v_mul_lo_u16 v61, v31, 19
	v_sub_nc_u16 v69, v14, v66
	v_mul_u32_u24_e32 v71, 0x2f69, v34
	v_mul_u32_u24_e32 v81, 0x2f69, v36
	v_mul_lo_u16 v73, v54, 27
	v_lshrrev_b16 v61, 9, v61
	v_lshrrev_b16 v69, 1, v69
	v_lshrrev_b32_e32 v71, 16, v71
	v_and_b32_e32 v37, 0xffff, v37
	v_sub_nc_u16 v72, v8, v73
	v_mul_lo_u16 v73, v61, 27
	v_add_nc_u16 v66, v69, v66
	v_sub_nc_u16 v74, v13, v71
	v_lshlrev_b32_e32 v53, 1, v53
	v_and_b32_e32 v69, 0xff, v72
	v_sub_nc_u16 v72, v6, v73
	v_lshrrev_b16 v66, 4, v66
	v_lshrrev_b16 v74, 1, v74
	v_mul_u32_u24_e32 v73, 0x2f69, v33
	v_lshlrev_b32_e32 v75, 3, v69
	v_and_b32_e32 v72, 0xff, v72
	v_mul_lo_u16 v76, v66, 27
	v_add_nc_u16 v71, v74, v71
	v_mul_u32_u24_e32 v74, 0x2f69, v32
	v_lshrrev_b32_e32 v77, 16, v73
	v_lshlrev_b32_e32 v73, 3, v72
	v_sub_nc_u16 v76, v14, v76
	v_lshrrev_b16 v71, 4, v71
	v_lshrrev_b32_e32 v74, 16, v74
	s_clause 0x1
	global_load_b64 v[87:88], v75, s[4:5] offset:96
	global_load_b64 v[91:92], v73, s[4:5] offset:96
	v_sub_nc_u16 v75, v12, v77
	v_and_b32_e32 v73, 0xffff, v76
	v_mul_lo_u16 v76, v71, 27
	v_sub_nc_u16 v78, v11, v74
	v_mul_u32_u24_e32 v37, 0xa2, v37
	v_lshrrev_b16 v75, 1, v75
	v_and_b32_e32 v3, 0xffff, v3
	v_sub_nc_u16 v79, v13, v76
	v_lshrrev_b16 v78, 1, v78
	v_mul_lo_u16 v30, 0xcb, v30
	v_add_nc_u16 v75, v75, v77
	v_lshlrev_b32_e32 v77, 3, v73
	v_and_b32_e32 v80, 0xffff, v79
	v_add_nc_u16 v74, v78, v74
	v_mul_u32_u24_e32 v3, 0xa2, v3
	v_lshrrev_b16 v76, 4, v75
	v_lshrrev_b32_e32 v75, 16, v81
	v_lshlrev_b32_e32 v78, 3, v80
	v_lshrrev_b16 v74, 4, v74
	global_load_b64 v[96:97], v77, s[4:5] offset:96
	v_lshrrev_b16 v30, 14, v30
	v_sub_nc_u16 v79, v10, v75
	global_load_b64 v[98:99], v78, s[4:5] offset:96
	v_mul_lo_u16 v77, v76, 27
	v_mul_lo_u16 v78, v74, 27
	;; [unrolled: 1-line block ×3, first 2 shown]
	v_lshrrev_b16 v79, 1, v79
	v_mul_u32_u24_e32 v35, 0x6523, v35
	v_sub_nc_u16 v77, v12, v77
	v_sub_nc_u16 v78, v11, v78
	v_mul_u32_u24_e32 v34, 0x6523, v34
	v_add_nc_u16 v79, v79, v75
	v_lshrrev_b32_e32 v35, 21, v35
	v_and_b32_e32 v77, 0xffff, v77
	v_and_b32_e32 v75, 0xffff, v78
	v_lshrrev_b32_e32 v34, 21, v34
	v_lshrrev_b16 v78, 4, v79
	v_mul_lo_u16 v35, 0x51, v35
	v_lshlrev_b32_e32 v81, 3, v77
	v_lshlrev_b32_e32 v79, 3, v75
	v_mul_u32_u24_e32 v33, 0x6523, v33
	v_mul_u32_u24_e32 v32, 0x6523, v32
	v_sub_nc_u16 v14, v14, v35
	s_clause 0x1
	global_load_b64 v[100:101], v81, s[4:5] offset:96
	global_load_b64 v[102:103], v79, s[4:5] offset:96
	v_mul_lo_u16 v81, v78, 27
	v_lshrrev_b32_e32 v33, 21, v33
	v_and_b32_e32 v35, 0xffff, v14
	v_mul_lo_u16 v14, 0x51, v34
	v_lshrrev_b32_e32 v32, 21, v32
	v_sub_nc_u16 v79, v10, v81
	s_delay_alu instid0(VALU_DEP_1) | instskip(NEXT) | instid1(VALU_DEP_1)
	v_and_b32_e32 v79, 0xffff, v79
	v_lshlrev_b32_e32 v81, 3, v79
	global_load_b64 v[104:105], v81, s[4:5] offset:96
	ds_load_u16 v86, v17 offset:1134
	ds_load_u16 v89, v17 offset:2268
	;; [unrolled: 1-line block ×8, first 2 shown]
	ds_load_u16 v81, v17
	ds_load_u16 v95, v17 offset:2394
	ds_load_u16 v113, v17 offset:2520
	ds_load_u16 v114, v17 offset:2646
	ds_load_u16 v115, v17 offset:2772
	ds_load_u16 v116, v17 offset:2898
	ds_load_u16 v117, v17 offset:2142
	s_wait_loadcnt 0x8
	v_lshrrev_b32_e32 v90, 16, v82
	v_lshrrev_b32_e32 v111, 16, v83
	s_wait_loadcnt 0x7
	v_lshrrev_b32_e32 v112, 16, v84
	s_wait_dscnt 0xe
	v_mul_f16_e32 v110, v86, v90
	v_mul_f16_e32 v90, v67, v90
	s_wait_dscnt 0xd
	v_mul_f16_e32 v118, v89, v111
	v_mul_f16_e32 v111, v70, v111
	v_fmac_f16_e32 v110, v67, v82
	v_fma_f16 v119, v86, v82, -v90
	s_wait_dscnt 0xc
	v_mul_f16_e32 v67, v93, v112
	v_fmac_f16_e32 v118, v70, v83
	v_lshrrev_b32_e32 v82, 16, v85
	v_fma_f16 v111, v89, v83, -v111
	v_mul_f16_e32 v83, v65, v112
	v_fmac_f16_e32 v67, v65, v84
	s_wait_dscnt 0x5
	v_mul_f16_e32 v70, v95, v82
	v_mul_f16_e32 v89, v68, v82
	v_fma_f16 v86, v93, v84, -v83
	s_delay_alu instid0(VALU_DEP_3) | instskip(NEXT) | instid1(VALU_DEP_3)
	v_fmac_f16_e32 v70, v68, v85
	v_fma_f16 v83, v95, v85, -v89
	s_wait_loadcnt 0x6
	v_lshrrev_b32_e32 v65, 16, v87
	v_lshrrev_b32_e32 v84, 16, v88
	s_wait_loadcnt 0x5
	v_lshrrev_b32_e32 v68, 16, v91
	s_delay_alu instid0(VALU_DEP_3)
	v_mul_f16_e32 v82, v94, v65
	s_wait_dscnt 0x4
	v_mul_f16_e32 v90, v113, v84
	v_mul_f16_e32 v65, v64, v65
	;; [unrolled: 1-line block ×3, first 2 shown]
	v_fmac_f16_e32 v82, v64, v87
	s_delay_alu instid0(VALU_DEP_4)
	v_fmac_f16_e32 v90, v62, v88
	v_mul_f16_e32 v64, v106, v68
	v_lshrrev_b32_e32 v62, 16, v92
	v_fma_f16 v95, v94, v87, -v65
	v_mul_f16_e32 v65, v63, v68
	v_fma_f16 v94, v113, v88, -v84
	v_fmac_f16_e32 v64, v63, v91
	s_wait_dscnt 0x3
	v_mul_f16_e32 v68, v114, v62
	v_mul_f16_e32 v62, v59, v62
	v_fma_f16 v87, v106, v91, -v65
	s_wait_loadcnt 0x4
	v_lshrrev_b32_e32 v85, 16, v96
	v_lshrrev_b32_e32 v63, 16, v97
	v_fmac_f16_e32 v68, v59, v92
	v_fma_f16 v88, v114, v92, -v62
	s_wait_loadcnt 0x3
	v_lshrrev_b32_e32 v62, 16, v98
	v_mul_f16_e32 v84, v107, v85
	v_mul_f16_e32 v59, v60, v85
	s_wait_dscnt 0x2
	v_mul_f16_e32 v91, v115, v63
	v_mul_f16_e32 v65, v108, v62
	v_fmac_f16_e32 v84, v60, v96
	v_fma_f16 v96, v107, v96, -v59
	v_mul_f16_e32 v59, v57, v63
	v_fmac_f16_e32 v91, v57, v97
	v_lshrrev_b32_e32 v57, 16, v99
	ds_load_u16 v60, v17 offset:2016
	v_mul_f16_e32 v62, v58, v62
	v_fma_f16 v97, v115, v97, -v59
	ds_load_u16 v59, v17 offset:3024
	s_wait_dscnt 0x3
	v_mul_f16_e32 v85, v116, v57
	v_mul_f16_e32 v57, v55, v57
	v_fmac_f16_e32 v65, v58, v98
	v_fma_f16 v92, v108, v98, -v62
	ds_load_u16 v62, v17 offset:3276
	s_wait_loadcnt 0x2
	v_lshrrev_b32_e32 v58, 16, v100
	v_fma_f16 v89, v116, v99, -v57
	ds_load_u16 v57, v17 offset:3150
	v_fmac_f16_e32 v85, v55, v99
	v_lshrrev_b32_e32 v55, 16, v101
	v_mul_f16_e32 v93, v109, v58
	v_mul_f16_e32 v58, v52, v58
	s_wait_loadcnt 0x1
	v_lshrrev_b32_e32 v63, 16, v102
	v_sub_f16_e32 v116, v92, v89
	ds_load_u16 v98, v27
	ds_load_u16 v99, v28
	;; [unrolled: 1-line block ×5, first 2 shown]
	v_fmac_f16_e32 v93, v52, v100
	v_mul_f16_e32 v52, v51, v55
	v_fma_f16 v100, v109, v100, -v58
	s_wait_dscnt 0x8
	v_mul_f16_e32 v109, v60, v63
	s_wait_dscnt 0x7
	v_mul_f16_e32 v112, v59, v55
	v_lshrrev_b32_e32 v55, 16, v103
	v_add_f16_e32 v58, v43, v64
	ds_load_u16 v122, v24
	ds_load_u16 v123, v25
	;; [unrolled: 1-line block ×3, first 2 shown]
	v_fmac_f16_e32 v109, v50, v102
	v_fmac_f16_e32 v112, v51, v101
	v_mul_f16_e32 v51, v50, v63
	v_fma_f16 v101, v59, v101, -v52
	s_wait_dscnt 0x8
	v_mul_f16_e32 v113, v57, v55
	s_wait_loadcnt 0x0
	v_lshrrev_b32_e32 v50, 16, v104
	v_lshrrev_b32_e32 v52, 16, v105
	v_fma_f16 v102, v60, v102, -v51
	v_mul_f16_e32 v51, v47, v55
	v_fmac_f16_e32 v113, v47, v103
	v_mul_f16_e32 v114, v117, v50
	v_mul_f16_e32 v47, v48, v50
	;; [unrolled: 1-line block ×4, first 2 shown]
	v_fma_f16 v103, v57, v103, -v51
	v_fmac_f16_e32 v114, v48, v104
	v_fma_f16 v104, v117, v104, -v47
	v_add_f16_e32 v47, v110, v118
	v_fmac_f16_e32 v115, v49, v105
	v_add_f16_e32 v48, v119, v111
	v_add_f16_e32 v49, v46, v110
	v_fma_f16 v105, v62, v105, -v50
	v_fmac_f16_e32 v46, -0.5, v47
	v_add_f16_e32 v47, v81, v119
	v_sub_f16_e32 v50, v119, v111
	v_fmac_f16_e32 v81, -0.5, v48
	v_add_f16_e32 v48, v49, v118
	v_add_f16_e32 v49, v67, v70
	v_sub_f16_e32 v51, v110, v118
	v_add_f16_e32 v110, v47, v111
	v_add_f16_e32 v47, v82, v90
	;; [unrolled: 1-line block ×5, first 2 shown]
	v_fmamk_f16 v52, v50, 0xbaee, v46
	v_fmac_f16_e32 v46, 0x3aee, v50
	v_add_f16_e32 v50, v45, v67
	v_fmac_f16_e32 v45, -0.5, v49
	v_sub_f16_e32 v49, v86, v83
	v_add_f16_e32 v57, v44, v82
	v_fmac_f16_e32 v44, -0.5, v47
	v_sub_f16_e32 v47, v95, v94
	v_fmac_f16_e32 v43, -0.5, v55
	v_sub_f16_e32 v55, v87, v88
	v_add_f16_e32 v62, v42, v84
	v_fmac_f16_e32 v42, -0.5, v59
	v_sub_f16_e32 v59, v96, v97
	v_add_f16_e32 v63, v38, v65
	v_fmac_f16_e32 v38, -0.5, v60
	v_add_f16_e32 v60, v93, v112
	v_fmamk_f16 v111, v51, 0x3aee, v81
	v_fmac_f16_e32 v81, 0xbaee, v51
	v_fmamk_f16 v51, v49, 0xbaee, v45
	v_fmac_f16_e32 v45, 0x3aee, v49
	;; [unrolled: 2-line block ×4, first 2 shown]
	v_fmamk_f16 v55, v59, 0xbaee, v42
	v_add_f16_e32 v117, v41, v93
	v_fmac_f16_e32 v41, -0.5, v60
	v_sub_f16_e32 v60, v100, v101
	v_fmac_f16_e32 v42, 0x3aee, v59
	v_fmamk_f16 v59, v116, 0xbaee, v38
	v_fmac_f16_e32 v38, 0x3aee, v116
	v_add_f16_e32 v116, v109, v113
	v_add_f16_e32 v119, v114, v115
	v_fmamk_f16 v118, v60, 0xbaee, v41
	v_fmac_f16_e32 v41, 0x3aee, v60
	v_add_f16_e32 v60, v40, v109
	v_fmac_f16_e32 v40, -0.5, v116
	v_sub_f16_e32 v116, v102, v103
	v_add_f16_e32 v120, v39, v114
	v_fmac_f16_e32 v39, -0.5, v119
	v_sub_f16_e32 v119, v104, v105
	global_wb scope:SCOPE_SE
	s_wait_dscnt 0x0
	v_fmamk_f16 v121, v116, 0xbaee, v40
	v_fmac_f16_e32 v40, 0x3aee, v116
	s_barrier_signal -1
	v_fmamk_f16 v116, v119, 0xbaee, v39
	v_fmac_f16_e32 v39, 0x3aee, v119
	v_add3_u32 v119, 0, v37, v53
	s_barrier_wait -1
	global_inv scope:SCOPE_SE
	ds_store_b16 v119, v48
	ds_store_b16 v119, v52 offset:54
	ds_store_b16 v119, v46 offset:108
	v_and_b32_e32 v46, 0xffff, v54
	v_lshlrev_b32_e32 v37, 1, v56
	v_add_f16_e32 v48, v50, v70
	v_lshlrev_b32_e32 v50, 1, v69
	v_lshlrev_b32_e32 v52, 1, v72
	v_mul_u32_u24_e32 v46, 0xa2, v46
	v_add3_u32 v3, 0, v3, v37
	v_and_b32_e32 v37, 0xffff, v61
	ds_store_b16 v3, v48
	ds_store_b16 v3, v51 offset:54
	ds_store_b16 v3, v45 offset:108
	v_add3_u32 v69, 0, v46, v50
	v_and_b32_e32 v46, 0xffff, v66
	v_mul_u32_u24_e32 v37, 0xa2, v37
	v_add_f16_e32 v45, v57, v90
	v_lshlrev_b32_e32 v50, 1, v73
	v_add_f16_e32 v48, v58, v68
	v_mul_u32_u24_e32 v46, 0xa2, v46
	v_add3_u32 v66, 0, v37, v52
	v_and_b32_e32 v37, 0xffff, v71
	ds_store_b16 v69, v45
	ds_store_b16 v69, v49 offset:54
	ds_store_b16 v69, v44 offset:108
	v_add_f16_e32 v44, v62, v91
	v_add3_u32 v71, 0, v46, v50
	ds_store_b16 v66, v48
	ds_store_b16 v66, v47 offset:54
	ds_store_b16 v66, v43 offset:108
	v_and_b32_e32 v43, 0xffff, v76
	v_add_f16_e32 v76, v86, v83
	ds_store_b16 v71, v44
	ds_store_b16 v71, v55 offset:54
	ds_store_b16 v71, v42 offset:108
	v_lshlrev_b32_e32 v44, 1, v77
	v_add_f16_e32 v77, v95, v94
	v_and_b32_e32 v45, 0xffff, v78
	v_add_f16_e32 v78, v108, v86
	v_fmac_f16_e32 v108, -0.5, v76
	v_sub_f16_e32 v67, v67, v70
	v_add_f16_e32 v70, v107, v95
	v_fmac_f16_e32 v107, -0.5, v77
	v_sub_f16_e32 v76, v82, v90
	v_add_f16_e32 v77, v78, v83
	v_fmamk_f16 v78, v67, 0x3aee, v108
	v_fmac_f16_e32 v108, 0xbaee, v67
	v_add_f16_e32 v67, v70, v94
	v_add_f16_e32 v70, v87, v88
	v_lshlrev_b32_e32 v51, 1, v80
	v_mul_u32_u24_e32 v37, 0xa2, v37
	v_and_b32_e32 v42, 0xffff, v74
	v_mul_u32_u24_e32 v43, 0xa2, v43
	v_lshlrev_b32_e32 v47, 1, v79
	v_fmamk_f16 v79, v76, 0x3aee, v107
	v_fmac_f16_e32 v107, 0xbaee, v76
	v_add_f16_e32 v76, v96, v97
	v_add_f16_e32 v80, v98, v87
	v_fmac_f16_e32 v98, -0.5, v70
	v_sub_f16_e32 v64, v64, v68
	v_add_f16_e32 v68, v99, v96
	v_add3_u32 v72, 0, v37, v51
	v_add_f16_e32 v37, v63, v85
	v_lshlrev_b32_e32 v46, 1, v75
	v_mul_u32_u24_e32 v42, 0xa2, v42
	v_mul_u32_u24_e32 v45, 0xa2, v45
	v_add3_u32 v73, 0, v43, v44
	v_add_f16_e32 v43, v117, v112
	v_fmac_f16_e32 v99, -0.5, v76
	v_sub_f16_e32 v70, v84, v91
	v_add_f16_e32 v76, v80, v88
	v_fmamk_f16 v80, v64, 0x3aee, v98
	v_fmac_f16_e32 v98, 0xbaee, v64
	v_add_f16_e32 v64, v68, v97
	v_add_f16_e32 v68, v92, v89
	ds_store_b16 v72, v37
	ds_store_b16 v72, v59 offset:54
	ds_store_b16 v72, v38 offset:108
	v_add3_u32 v74, 0, v42, v46
	v_add_f16_e32 v37, v60, v113
	v_add_f16_e32 v38, v120, v115
	v_add3_u32 v75, 0, v45, v47
	ds_store_b16 v73, v43
	ds_store_b16 v73, v118 offset:54
	ds_store_b16 v73, v41 offset:108
	ds_store_b16 v74, v37
	ds_store_b16 v74, v121 offset:54
	ds_store_b16 v74, v40 offset:108
	;; [unrolled: 3-line block ×3, first 2 shown]
	global_wb scope:SCOPE_SE
	s_wait_dscnt 0x0
	s_barrier_signal -1
	s_barrier_wait -1
	global_inv scope:SCOPE_SE
	ds_load_u16 v41, v27
	ds_load_u16 v40, v28
	;; [unrolled: 1-line block ×3, first 2 shown]
	ds_load_u16 v58, v17 offset:2520
	ds_load_u16 v55, v17 offset:2646
	;; [unrolled: 1-line block ×4, first 2 shown]
	ds_load_u16 v45, v17
	ds_load_u16 v61, v17 offset:1134
	ds_load_u16 v60, v17 offset:1260
	;; [unrolled: 1-line block ×10, first 2 shown]
	ds_load_u16 v42, v24
	ds_load_u16 v38, v25
	;; [unrolled: 1-line block ×3, first 2 shown]
	ds_load_u16 v62, v17 offset:2394
	ds_load_u16 v63, v17 offset:2268
	;; [unrolled: 1-line block ×3, first 2 shown]
	ds_load_u16 v43, v23
	ds_load_u16 v44, v22
	ds_load_u16 v47, v17 offset:3276
	global_wb scope:SCOPE_SE
	s_wait_dscnt 0x0
	s_barrier_signal -1
	s_barrier_wait -1
	global_inv scope:SCOPE_SE
	ds_store_b16 v119, v110
	ds_store_b16 v119, v111 offset:54
	ds_store_b16 v119, v81 offset:108
	v_fmamk_f16 v81, v70, 0x3aee, v99
	v_fmac_f16_e32 v99, 0xbaee, v70
	v_add_f16_e32 v70, v100, v101
	v_add_f16_e32 v82, v106, v92
	v_fmac_f16_e32 v106, -0.5, v68
	v_sub_f16_e32 v65, v65, v85
	v_add_f16_e32 v68, v122, v100
	v_fmac_f16_e32 v122, -0.5, v70
	v_sub_f16_e32 v70, v93, v112
	v_add_f16_e32 v82, v82, v89
	ds_store_b16 v3, v77
	ds_store_b16 v3, v78 offset:54
	ds_store_b16 v3, v108 offset:108
	ds_store_b16 v69, v67
	ds_store_b16 v69, v79 offset:54
	ds_store_b16 v69, v107 offset:108
	;; [unrolled: 3-line block ×4, first 2 shown]
	v_mov_b32_e32 v3, 0
	v_fmamk_f16 v83, v65, 0x3aee, v106
	v_fmac_f16_e32 v106, 0xbaee, v65
	v_add_f16_e32 v65, v68, v101
	v_fmamk_f16 v84, v70, 0x3aee, v122
	v_fmac_f16_e32 v122, 0xbaee, v70
	ds_store_b16 v72, v82
	ds_store_b16 v72, v83 offset:54
	ds_store_b16 v72, v106 offset:108
	ds_store_b16 v73, v65
	ds_store_b16 v73, v84 offset:54
	ds_store_b16 v73, v122 offset:108
	v_lshlrev_b64_e32 v[64:65], 2, v[2:3]
	v_subrev_nc_u32_e32 v2, 18, v4
	v_add_f16_e32 v68, v102, v103
	v_add_f16_e32 v70, v104, v105
	v_add_f16_e32 v85, v123, v102
	v_add_f16_e32 v86, v124, v104
	s_wait_alu 0xf1ff
	v_cndmask_b32_e64 v2, v2, v7, s0
	v_fmac_f16_e32 v123, -0.5, v68
	v_sub_f16_e32 v68, v109, v113
	v_fmac_f16_e32 v124, -0.5, v70
	v_sub_f16_e32 v70, v114, v115
	v_lshlrev_b32_e32 v2, 1, v2
	v_add_co_u32 v64, s0, s4, v64
	v_add_f16_e32 v85, v85, v103
	v_fmamk_f16 v87, v68, 0x3aee, v123
	s_delay_alu instid0(VALU_DEP_4)
	v_lshlrev_b64_e32 v[66:67], 2, v[2:3]
	v_fmac_f16_e32 v123, 0xbaee, v68
	v_add_f16_e32 v68, v86, v105
	s_wait_alu 0xf1ff
	v_add_co_ci_u32_e64 v65, s0, s5, v65, s0
	v_fmamk_f16 v86, v70, 0x3aee, v124
	v_fmac_f16_e32 v124, 0xbaee, v70
	v_mul_lo_u16 v3, 0x51, v30
	ds_store_b16 v74, v85
	ds_store_b16 v74, v87 offset:54
	ds_store_b16 v74, v123 offset:108
	ds_store_b16 v75, v68
	ds_store_b16 v75, v86 offset:54
	ds_store_b16 v75, v124 offset:108
	global_wb scope:SCOPE_SE
	s_wait_dscnt 0x0
	s_barrier_signal -1
	s_barrier_wait -1
	global_inv scope:SCOPE_SE
	global_load_b64 v[68:69], v[64:65], off offset:312
	v_add_co_u32 v64, s0, s4, v66
	v_sub_nc_u16 v70, v8, v3
	s_wait_alu 0xf1ff
	v_add_co_ci_u32_e64 v65, s0, s5, v67, s0
	v_lshrrev_b16 v3, 14, v31
	v_sub_nc_u16 v66, v13, v14
	v_and_b32_e32 v31, 0xff, v70
	global_load_b64 v[70:71], v[64:65], off offset:312
	v_cmp_lt_u32_e64 s0, 17, v4
	v_mul_lo_u16 v64, 0x51, v3
	v_and_b32_e32 v3, 0xffff, v3
	v_lshlrev_b32_e32 v65, 3, v31
	s_delay_alu instid0(VALU_DEP_3) | instskip(NEXT) | instid1(VALU_DEP_3)
	v_sub_nc_u16 v64, v6, v64
	v_mul_u32_u24_e32 v3, 0x1e6, v3
	global_load_b64 v[76:77], v65, s[4:5] offset:312
	v_and_b32_e32 v64, 0xff, v64
	s_delay_alu instid0(VALU_DEP_1)
	v_lshlrev_b32_e32 v65, 3, v64
	global_load_b64 v[80:81], v65, s[4:5] offset:312
	v_lshlrev_b32_e32 v65, 3, v35
	global_load_b64 v[13:14], v65, s[4:5] offset:312
	v_and_b32_e32 v65, 0xffff, v66
	v_mul_lo_u16 v66, 0x51, v33
	s_delay_alu instid0(VALU_DEP_2) | instskip(NEXT) | instid1(VALU_DEP_2)
	v_lshlrev_b32_e32 v67, 3, v65
	v_sub_nc_u16 v12, v12, v66
	v_mul_lo_u16 v66, 0x51, v32
	global_load_b64 v[91:92], v67, s[4:5] offset:312
	v_and_b32_e32 v97, 0xffff, v12
	v_mul_u32_u24_e32 v12, 0x6523, v36
	v_sub_nc_u16 v11, v11, v66
	s_delay_alu instid0(VALU_DEP_3) | instskip(NEXT) | instid1(VALU_DEP_3)
	v_lshlrev_b32_e32 v36, 3, v97
	v_lshrrev_b32_e32 v66, 21, v12
	s_delay_alu instid0(VALU_DEP_3) | instskip(SKIP_3) | instid1(VALU_DEP_2)
	v_and_b32_e32 v98, 0xffff, v11
	global_load_b64 v[11:12], v36, s[4:5] offset:312
	v_mul_lo_u16 v36, 0x51, v66
	v_lshlrev_b32_e32 v66, 3, v98
	v_sub_nc_u16 v10, v10, v36
	global_load_b64 v[93:94], v66, s[4:5] offset:312
	v_and_b32_e32 v36, 0xffff, v10
	s_delay_alu instid0(VALU_DEP_1)
	v_lshlrev_b32_e32 v10, 3, v36
	global_load_b64 v[95:96], v10, s[4:5] offset:312
	ds_load_u16 v10, v17 offset:1134
	ds_load_u16 v72, v17 offset:2268
	;; [unrolled: 1-line block ×13, first 2 shown]
	ds_load_u16 v66, v17
	ds_load_u16 v105, v17 offset:2142
	ds_load_u16 v106, v17 offset:2016
	s_wait_loadcnt 0x8
	v_lshrrev_b32_e32 v67, 16, v68
	v_lshrrev_b32_e32 v74, 16, v69
	s_wait_dscnt 0xf
	s_delay_alu instid0(VALU_DEP_2)
	v_mul_f16_e32 v84, v10, v67
	v_mul_f16_e32 v67, v61, v67
	s_wait_dscnt 0xe
	v_mul_f16_e32 v87, v72, v74
	s_wait_loadcnt 0x7
	v_lshrrev_b32_e32 v75, 16, v70
	v_fmac_f16_e32 v84, v61, v68
	v_fma_f16 v90, v10, v68, -v67
	v_mul_f16_e32 v10, v63, v74
	v_fmac_f16_e32 v87, v63, v69
	s_wait_dscnt 0xd
	v_mul_f16_e32 v67, v73, v75
	v_lshrrev_b32_e32 v61, 16, v71
	v_mul_f16_e32 v63, v60, v75
	v_fma_f16 v75, v72, v69, -v10
	s_wait_loadcnt 0x6
	v_lshrrev_b32_e32 v10, 16, v76
	v_fmac_f16_e32 v67, v60, v70
	s_wait_dscnt 0xc
	v_mul_f16_e32 v74, v78, v61
	v_mul_f16_e32 v60, v62, v61
	v_lshrrev_b32_e32 v61, 16, v77
	s_wait_dscnt 0x7
	v_mul_f16_e32 v72, v85, v10
	v_mul_f16_e32 v10, v59, v10
	v_fmac_f16_e32 v74, v62, v71
	v_fma_f16 v82, v78, v71, -v60
	v_mul_f16_e32 v79, v83, v61
	v_fmac_f16_e32 v72, v59, v76
	v_mul_f16_e32 v59, v58, v61
	v_fma_f16 v86, v85, v76, -v10
	s_wait_loadcnt 0x5
	v_lshrrev_b32_e32 v10, 16, v80
	v_fmac_f16_e32 v79, v58, v77
	v_lshrrev_b32_e32 v62, 16, v81
	v_fma_f16 v85, v83, v77, -v59
	ds_load_u16 v60, v27
	ds_load_u16 v59, v28
	;; [unrolled: 1-line block ×3, first 2 shown]
	s_wait_dscnt 0x9
	v_mul_f16_e32 v61, v88, v10
	v_mul_f16_e32 v10, v57, v10
	s_wait_loadcnt 0x4
	v_lshrrev_b32_e32 v27, 16, v13
	v_mul_f16_e32 v28, v55, v62
	v_fma_f16 v89, v73, v70, -v63
	v_mul_f16_e32 v68, v99, v62
	v_fma_f16 v88, v88, v80, -v10
	v_lshrrev_b32_e32 v10, 16, v14
	s_wait_dscnt 0x8
	v_mul_f16_e32 v69, v102, v27
	v_mul_f16_e32 v27, v56, v27
	v_fma_f16 v76, v99, v81, -v28
	v_fmac_f16_e32 v68, v55, v81
	v_mul_f16_e32 v73, v100, v10
	v_fmac_f16_e32 v69, v56, v13
	s_wait_loadcnt 0x3
	v_lshrrev_b32_e32 v28, 16, v91
	v_mul_f16_e32 v10, v53, v10
	v_fma_f16 v83, v102, v13, -v27
	ds_load_u16 v13, v17 offset:3024
	v_lshrrev_b32_e32 v27, 16, v92
	v_fmac_f16_e32 v61, v57, v80
	v_fma_f16 v81, v100, v14, -v10
	v_mul_f16_e32 v10, v54, v28
	v_fmac_f16_e32 v73, v53, v14
	s_wait_loadcnt 0x2
	v_lshrrev_b32_e32 v29, 16, v11
	v_mul_f16_e32 v62, v101, v27
	s_wait_dscnt 0x8
	v_mul_f16_e32 v55, v103, v28
	v_fma_f16 v80, v103, v91, -v10
	v_mul_f16_e32 v10, v50, v27
	v_lshrrev_b32_e32 v27, 16, v12
	s_wait_dscnt 0x7
	v_mul_f16_e32 v63, v104, v29
	v_mul_f16_e32 v29, v51, v29
	ds_load_u16 v14, v17 offset:3150
	ds_load_u16 v28, v17 offset:3276
	v_fma_f16 v70, v101, v92, -v10
	s_wait_loadcnt 0x1
	v_lshrrev_b32_e32 v10, 16, v93
	v_fmac_f16_e32 v63, v51, v11
	v_fma_f16 v77, v104, v11, -v29
	v_mul_f16_e32 v11, v52, v27
	v_fmac_f16_e32 v55, v54, v91
	s_wait_dscnt 0x6
	v_mul_f16_e32 v51, v106, v10
	v_mul_f16_e32 v10, v49, v10
	s_wait_dscnt 0x2
	v_mul_f16_e32 v71, v13, v27
	v_fma_f16 v78, v13, v12, -v11
	v_lshrrev_b32_e32 v27, 16, v94
	v_fmac_f16_e32 v51, v49, v93
	s_wait_loadcnt 0x0
	v_lshrrev_b32_e32 v11, 16, v95
	v_fma_f16 v54, v106, v93, -v10
	v_lshrrev_b32_e32 v10, 16, v96
	v_fmac_f16_e32 v71, v52, v12
	v_mul_f16_e32 v12, v46, v27
	v_mul_f16_e32 v49, v105, v11
	;; [unrolled: 1-line block ×3, first 2 shown]
	s_wait_dscnt 0x1
	v_mul_f16_e32 v52, v14, v27
	s_wait_dscnt 0x0
	v_mul_f16_e32 v57, v28, v10
	v_mul_f16_e32 v10, v47, v10
	v_fmac_f16_e32 v49, v48, v95
	v_fma_f16 v48, v105, v95, -v11
	v_add_f16_e32 v11, v84, v87
	v_add_f16_e32 v27, v45, v84
	v_fma_f16 v56, v14, v94, -v12
	v_fmac_f16_e32 v57, v47, v96
	v_add_f16_e32 v12, v67, v74
	v_fmac_f16_e32 v45, -0.5, v11
	v_sub_f16_e32 v11, v90, v75
	v_fma_f16 v47, v28, v96, -v10
	v_fmac_f16_e32 v62, v50, v92
	v_add_f16_e32 v29, v44, v67
	v_fmac_f16_e32 v44, -0.5, v12
	v_fmamk_f16 v10, v11, 0xbaee, v45
	v_fmac_f16_e32 v45, 0x3aee, v11
	v_add_f16_e32 v11, v61, v68
	v_sub_f16_e32 v12, v89, v82
	v_add_f16_e32 v13, v72, v79
	v_add_f16_e32 v93, v41, v61
	v_fmac_f16_e32 v52, v46, v94
	v_fmac_f16_e32 v41, -0.5, v11
	v_sub_f16_e32 v11, v88, v76
	v_fmamk_f16 v28, v12, 0xbaee, v44
	v_add_f16_e32 v46, v43, v72
	v_fmac_f16_e32 v43, -0.5, v13
	v_sub_f16_e32 v13, v86, v85
	v_fmac_f16_e32 v44, 0x3aee, v12
	v_add_f16_e32 v12, v69, v73
	v_fmamk_f16 v95, v11, 0xbaee, v41
	v_fmac_f16_e32 v41, 0x3aee, v11
	v_add_f16_e32 v11, v55, v62
	v_fmamk_f16 v94, v13, 0xbaee, v43
	v_fmac_f16_e32 v43, 0x3aee, v13
	v_add_f16_e32 v96, v40, v69
	v_fmac_f16_e32 v40, -0.5, v12
	s_wait_alu 0xf1ff
	v_cndmask_b32_e64 v12, 0, 0x1e6, s0
	v_sub_f16_e32 v13, v83, v81
	v_add_f16_e32 v99, v39, v55
	v_fmac_f16_e32 v39, -0.5, v11
	v_sub_f16_e32 v11, v80, v70
	v_add3_u32 v2, 0, v12, v2
	v_fmamk_f16 v100, v13, 0xbaee, v40
	v_add_f16_e32 v12, v63, v71
	v_fmac_f16_e32 v40, 0x3aee, v13
	v_fmamk_f16 v101, v11, 0xbaee, v39
	v_fmac_f16_e32 v39, 0x3aee, v11
	v_add_f16_e32 v11, v51, v52
	v_add_f16_e32 v13, v49, v57
	;; [unrolled: 1-line block ×3, first 2 shown]
	v_fmac_f16_e32 v42, -0.5, v12
	v_sub_f16_e32 v12, v77, v78
	v_add_f16_e32 v103, v38, v51
	v_fmac_f16_e32 v38, -0.5, v11
	v_sub_f16_e32 v11, v54, v56
	v_add_f16_e32 v104, v37, v49
	v_fmac_f16_e32 v37, -0.5, v13
	v_sub_f16_e32 v14, v48, v47
	ds_load_u16 v50, v23
	ds_load_u16 v53, v22
	v_fmamk_f16 v105, v12, 0xbaee, v42
	v_fmac_f16_e32 v42, 0x3aee, v12
	v_fmamk_f16 v13, v11, 0xbaee, v38
	v_fmac_f16_e32 v38, 0x3aee, v11
	v_fmamk_f16 v11, v14, 0xbaee, v37
	v_fmac_f16_e32 v37, 0x3aee, v14
	ds_load_u16 v91, v24
	ds_load_u16 v14, v25
	;; [unrolled: 1-line block ×3, first 2 shown]
	v_and_b32_e32 v25, 0xffff, v30
	v_lshlrev_b32_e32 v26, 1, v31
	v_add_f16_e32 v24, v27, v87
	v_add_f16_e32 v27, v29, v74
	v_lshlrev_b32_e32 v29, 1, v97
	v_mul_u32_u24_e32 v25, 0x1e6, v25
	v_add_f16_e32 v31, v46, v79
	global_wb scope:SCOPE_SE
	s_wait_dscnt 0x0
	s_barrier_signal -1
	s_barrier_wait -1
	v_add3_u32 v92, 0, v25, v26
	v_lshlrev_b32_e32 v25, 1, v64
	v_lshlrev_b32_e32 v26, 1, v65
	global_inv scope:SCOPE_SE
	ds_store_b16 v17, v24
	ds_store_b16 v17, v10 offset:162
	ds_store_b16 v17, v45 offset:324
	v_lshlrev_b32_e32 v30, 1, v98
	v_add3_u32 v3, 0, v3, v25
	v_mul_u32_u24_e32 v25, 0x1e6, v34
	v_add_f16_e32 v45, v93, v68
	v_add_f16_e32 v46, v96, v73
	v_add_f16_e32 v93, v99, v62
	v_add_f16_e32 v97, v102, v71
	v_add3_u32 v65, 0, v25, v26
	v_mul_u32_u24_e32 v25, 0x1e6, v33
	v_mul_u32_u24_e32 v26, 0x1e6, v32
	ds_store_b16 v2, v27
	ds_store_b16 v2, v28 offset:162
	ds_store_b16 v2, v44 offset:324
	ds_store_b16 v92, v31
	ds_store_b16 v92, v94 offset:162
	ds_store_b16 v92, v43 offset:324
	v_lshl_add_u32 v64, v35, 1, 0
	v_add3_u32 v94, 0, v25, v29
	v_add_f16_e32 v10, v103, v52
	ds_store_b16 v3, v45
	ds_store_b16 v3, v95 offset:162
	ds_store_b16 v3, v41 offset:324
	v_add3_u32 v95, 0, v26, v30
	v_add_f16_e32 v24, v104, v57
	ds_store_b16 v64, v46 offset:1458
	ds_store_b16 v64, v100 offset:1620
	;; [unrolled: 1-line block ×3, first 2 shown]
	ds_store_b16 v65, v93
	ds_store_b16 v65, v101 offset:162
	ds_store_b16 v65, v39 offset:324
	v_lshl_add_u32 v96, v36, 1, 0
	ds_store_b16 v94, v97
	ds_store_b16 v94, v105 offset:162
	ds_store_b16 v94, v42 offset:324
	ds_store_b16 v95, v10
	ds_store_b16 v95, v13 offset:162
	ds_store_b16 v95, v38 offset:324
	;; [unrolled: 1-line block ×5, first 2 shown]
	global_wb scope:SCOPE_SE
	s_wait_dscnt 0x0
	s_barrier_signal -1
	s_barrier_wait -1
	global_inv scope:SCOPE_SE
	ds_load_u16 v26, v17
	ds_load_u16 v41, v17 offset:486
	ds_load_u16 v28, v17 offset:612
	ds_load_u16 v27, v17 offset:1584
	ds_load_u16 v42, v17 offset:2916
	ds_load_u16 v29, v17 offset:3042
	ds_load_u16 v43, v17 offset:1458
	ds_load_u16 v33, v17 offset:1224
	ds_load_u16 v30, v17 offset:1098
	ds_load_u16 v44, v17 offset:972
	ds_load_u16 v35, v17 offset:738
	ds_load_u16 v34, v17 offset:2682
	ds_load_u16 v31, v17 offset:2556
	ds_load_u16 v45, v17 offset:2430
	ds_load_u16 v36, v17 offset:2196
	ds_load_u16 v32, v17 offset:2070
	ds_load_u16 v46, v17 offset:1944
	ds_load_u16 v39, v17 offset:1710
	ds_load_u16 v25, v23
	ds_load_u16 v23, v22
	ds_load_u16 v40, v17 offset:3168
	v_sub_nc_u32_e32 v98, 0, v21
	v_sub_nc_u32_e32 v97, 0, v20
	v_cmp_gt_u32_e64 s0, 54, v4
	v_add_nc_u32_e32 v93, v18, v19
                                        ; implicit-def: $vgpr18
	s_delay_alu instid0(VALU_DEP_2)
	s_and_saveexec_b32 s1, s0
	s_cbranch_execz .LBB0_15
; %bb.14:
	ds_load_u16 v13, v17 offset:864
	ds_load_u16 v38, v17 offset:1350
	;; [unrolled: 1-line block ×5, first 2 shown]
	ds_load_u16 v10, v93
	ds_load_u16 v18, v17 offset:3294
.LBB0_15:
	s_wait_alu 0xfffe
	s_or_b32 exec_lo, exec_lo, s1
	v_add_f16_e32 v19, v90, v75
	v_add_f16_e32 v20, v66, v90
	;; [unrolled: 1-line block ×3, first 2 shown]
	v_sub_f16_e32 v21, v84, v87
	v_add_f16_e32 v84, v86, v85
	v_fmac_f16_e32 v66, -0.5, v19
	v_add_f16_e32 v19, v53, v89
	v_add_f16_e32 v75, v20, v75
	v_fmac_f16_e32 v53, -0.5, v22
	v_sub_f16_e32 v20, v67, v74
	v_fmamk_f16 v87, v21, 0x3aee, v66
	v_add_f16_e32 v67, v19, v82
	v_add_f16_e32 v19, v50, v86
	v_fmac_f16_e32 v66, 0xbaee, v21
	v_fmac_f16_e32 v50, -0.5, v84
	v_sub_f16_e32 v21, v72, v79
	v_fmamk_f16 v72, v20, 0x3aee, v53
	v_fmac_f16_e32 v53, 0xbaee, v20
	v_add_f16_e32 v74, v19, v85
	v_add_f16_e32 v19, v88, v76
	;; [unrolled: 1-line block ×3, first 2 shown]
	v_fmamk_f16 v79, v21, 0x3aee, v50
	v_fmac_f16_e32 v50, 0xbaee, v21
	v_add_f16_e32 v21, v83, v81
	v_fmac_f16_e32 v60, -0.5, v19
	v_sub_f16_e32 v19, v61, v68
	v_add_f16_e32 v61, v20, v76
	v_add_f16_e32 v20, v59, v83
	v_fmac_f16_e32 v59, -0.5, v21
	v_sub_f16_e32 v21, v69, v73
	v_fmamk_f16 v68, v19, 0x3aee, v60
	v_fmac_f16_e32 v60, 0xbaee, v19
	v_add_f16_e32 v69, v20, v81
	v_add_f16_e32 v19, v80, v70
	;; [unrolled: 1-line block ×3, first 2 shown]
	v_fmamk_f16 v73, v21, 0x3aee, v59
	v_fmac_f16_e32 v59, 0xbaee, v21
	v_add_f16_e32 v21, v77, v78
	v_fmac_f16_e32 v58, -0.5, v19
	v_sub_f16_e32 v19, v55, v62
	v_add_f16_e32 v55, v20, v70
	v_add_f16_e32 v20, v91, v77
	v_fmac_f16_e32 v91, -0.5, v21
	v_sub_f16_e32 v21, v63, v71
	v_fmamk_f16 v62, v19, 0x3aee, v58
	v_fmac_f16_e32 v58, 0xbaee, v19
	v_add_f16_e32 v63, v20, v78
	v_add_f16_e32 v19, v54, v56
	v_add_f16_e32 v20, v48, v47
	v_fmamk_f16 v70, v21, 0x3aee, v91
	v_fmac_f16_e32 v91, 0xbaee, v21
	v_add_f16_e32 v21, v14, v54
	v_fmac_f16_e32 v14, -0.5, v19
	v_sub_f16_e32 v22, v51, v52
	v_add_f16_e32 v48, v12, v48
	v_fmac_f16_e32 v12, -0.5, v20
	v_sub_f16_e32 v49, v49, v57
	v_add_f16_e32 v19, v21, v56
	v_fmamk_f16 v21, v22, 0x3aee, v14
	v_fmac_f16_e32 v14, 0xbaee, v22
	v_add_f16_e32 v22, v48, v47
	v_fmamk_f16 v20, v49, 0x3aee, v12
	v_fmac_f16_e32 v12, 0xbaee, v49
	global_wb scope:SCOPE_SE
	s_wait_dscnt 0x0
	s_barrier_signal -1
	s_barrier_wait -1
	global_inv scope:SCOPE_SE
	ds_store_b16 v17, v75
	ds_store_b16 v17, v87 offset:162
	ds_store_b16 v17, v66 offset:324
	ds_store_b16 v2, v67
	ds_store_b16 v2, v72 offset:162
	ds_store_b16 v2, v53 offset:324
	;; [unrolled: 3-line block ×4, first 2 shown]
	ds_store_b16 v64, v69 offset:1458
	ds_store_b16 v64, v73 offset:1620
	;; [unrolled: 1-line block ×3, first 2 shown]
	ds_store_b16 v65, v55
	ds_store_b16 v65, v62 offset:162
	ds_store_b16 v65, v58 offset:324
	ds_store_b16 v94, v63
	ds_store_b16 v94, v70 offset:162
	ds_store_b16 v94, v91 offset:324
	;; [unrolled: 3-line block ×3, first 2 shown]
	ds_store_b16 v96, v22 offset:2916
	ds_store_b16 v96, v20 offset:3078
	;; [unrolled: 1-line block ×3, first 2 shown]
	v_add_nc_u32_e32 v3, v15, v97
	global_wb scope:SCOPE_SE
	s_wait_dscnt 0x0
	s_barrier_signal -1
	s_barrier_wait -1
	global_inv scope:SCOPE_SE
	v_add_nc_u32_e32 v2, v16, v98
	ds_load_u16 v48, v17
	ds_load_u16 v61, v17 offset:486
	ds_load_u16 v50, v17 offset:612
	;; [unrolled: 1-line block ×7, first 2 shown]
	ds_load_u16 v47, v3
	ds_load_u16 v64, v17 offset:1458
	ds_load_u16 v55, v17 offset:1224
	;; [unrolled: 1-line block ×10, first 2 shown]
	ds_load_u16 v16, v2
	ds_load_u16 v60, v17 offset:3168
                                        ; implicit-def: $vgpr15
	s_and_saveexec_b32 s1, s0
	s_cbranch_execz .LBB0_17
; %bb.16:
	ds_load_u16 v21, v17 offset:864
	ds_load_u16 v14, v17 offset:1350
	;; [unrolled: 1-line block ×5, first 2 shown]
	ds_load_u16 v19, v93
	ds_load_u16 v15, v17 offset:3294
.LBB0_17:
	s_wait_alu 0xfffe
	s_or_b32 exec_lo, exec_lo, s1
	s_and_saveexec_b32 s1, vcc_lo
	s_cbranch_execz .LBB0_20
; %bb.18:
	v_mul_u32_u24_e32 v2, 6, v4
	v_mad_co_u64_u32 v[83:84], null, s8, v4, 0
	v_mov_b32_e32 v3, 0
	v_mul_i32_i24_e32 v7, 6, v7
	s_delay_alu instid0(VALU_DEP_4) | instskip(SKIP_1) | instid1(VALU_DEP_1)
	v_lshlrev_b32_e32 v17, 2, v2
	v_mul_i32_i24_e32 v2, 6, v8
	v_lshlrev_b64_e32 v[71:72], 2, v[2:3]
	v_mov_b32_e32 v2, v84
	v_mov_b32_e32 v8, v3
	s_clause 0x1
	global_load_b128 v[67:70], v17, s[4:5] offset:960
	global_load_b64 v[79:80], v17, s[4:5] offset:976
	v_add_nc_u32_e32 v17, 0xf3, v4
	v_add_co_u32 v75, vcc_lo, s4, v71
	v_lshlrev_b64_e32 v[7:8], 2, v[7:8]
	s_wait_alu 0xfffd
	v_add_co_ci_u32_e32 v76, vcc_lo, s5, v72, vcc_lo
	v_mad_co_u64_u32 v[87:88], null, s9, v4, v[2:3]
	s_clause 0x1
	global_load_b128 v[71:74], v[75:76], off offset:960
	global_load_b64 v[81:82], v[75:76], off offset:976
	v_add_co_u32 v7, vcc_lo, s4, v7
	s_wait_alu 0xfffd
	v_add_co_ci_u32_e32 v8, vcc_lo, s5, v8, vcc_lo
	s_clause 0x1
	global_load_b128 v[75:78], v[7:8], off offset:960
	global_load_b64 v[7:8], v[7:8], off offset:976
	v_mad_co_u64_u32 v[85:86], null, s8, v17, 0
	v_dual_mov_b32 v84, v87 :: v_dual_add_nc_u32 v95, 0x2d9, v4
	v_add_co_u32 v0, vcc_lo, s10, v0
	s_wait_alu 0xfffd
	v_add_co_ci_u32_e32 v1, vcc_lo, s11, v1, vcc_lo
	s_delay_alu instid0(VALU_DEP_3) | instskip(SKIP_3) | instid1(VALU_DEP_2)
	v_mad_co_u64_u32 v[90:91], null, s8, v95, 0
	v_add_nc_u32_e32 v94, 0x1e6, v4
	v_mov_b32_e32 v2, v86
	v_lshlrev_b64_e32 v[83:84], 2, v[83:84]
	v_mad_co_u64_u32 v[92:93], null, s9, v17, v[2:3]
	v_mov_b32_e32 v17, v91
	v_mad_co_u64_u32 v[88:89], null, s8, v94, 0
	v_add_nc_u32_e32 v87, 0x3cc, v4
	v_add_co_u32 v83, vcc_lo, v0, v83
	v_mov_b32_e32 v86, v92
	s_wait_alu 0xfffd
	v_add_co_ci_u32_e32 v84, vcc_lo, v1, v84, vcc_lo
	v_mov_b32_e32 v2, v89
	s_delay_alu instid0(VALU_DEP_1)
	v_mad_co_u64_u32 v[91:92], null, s9, v94, v[2:3]
	s_wait_loadcnt 0x5
	v_lshrrev_b32_e32 v2, 16, v67
	v_lshrrev_b32_e32 v89, 16, v68
	s_wait_loadcnt 0x4
	v_lshrrev_b32_e32 v92, 16, v80
	v_lshrrev_b32_e32 v93, 16, v70
	;; [unrolled: 1-line block ×4, first 2 shown]
	s_wait_dscnt 0x13
	v_mul_f16_e32 v97, v61, v2
	s_wait_dscnt 0xe
	v_mul_f16_e32 v98, v62, v92
	;; [unrolled: 2-line block ×3, first 2 shown]
	v_mul_f16_e32 v100, v64, v94
	v_mul_f16_e32 v101, v63, v89
	;; [unrolled: 1-line block ×9, first 2 shown]
	s_wait_loadcnt 0x3
	v_lshrrev_b32_e32 v103, 16, v71
	v_lshrrev_b32_e32 v104, 16, v72
	;; [unrolled: 1-line block ×4, first 2 shown]
	s_wait_loadcnt 0x2
	v_lshrrev_b32_e32 v107, 16, v81
	v_lshrrev_b32_e32 v108, 16, v82
	v_fmac_f16_e32 v97, v41, v67
	v_fmac_f16_e32 v98, v42, v80
	;; [unrolled: 1-line block ×6, first 2 shown]
	v_fma_f16 v41, v62, v80, -v92
	v_fma_f16 v2, v61, v67, -v2
	;; [unrolled: 1-line block ×6, first 2 shown]
	v_mul_f16_e32 v46, v56, v103
	s_wait_dscnt 0x0
	v_mul_f16_e32 v61, v60, v108
	v_mul_f16_e32 v62, v58, v106
	;; [unrolled: 1-line block ×11, first 2 shown]
	s_wait_loadcnt 0x1
	v_lshrrev_b32_e32 v80, 16, v75
	v_lshrrev_b32_e32 v89, 16, v76
	;; [unrolled: 1-line block ×4, first 2 shown]
	s_wait_loadcnt 0x0
	v_lshrrev_b32_e32 v94, 16, v7
	v_lshrrev_b32_e32 v96, 16, v8
	v_sub_f16_e32 v103, v97, v98
	v_sub_f16_e32 v104, v99, v100
	;; [unrolled: 1-line block ×3, first 2 shown]
	v_add_f16_e32 v106, v2, v41
	v_add_f16_e32 v107, v43, v42
	;; [unrolled: 1-line block ×6, first 2 shown]
	v_sub_f16_e32 v2, v2, v41
	v_sub_f16_e32 v41, v43, v42
	;; [unrolled: 1-line block ×3, first 2 shown]
	v_fmac_f16_e32 v46, v35, v71
	v_fmac_f16_e32 v61, v40, v82
	;; [unrolled: 1-line block ×6, first 2 shown]
	v_fma_f16 v33, v60, v82, -v66
	v_fma_f16 v34, v56, v71, -v67
	;; [unrolled: 1-line block ×6, first 2 shown]
	v_mul_f16_e32 v43, v50, v80
	v_mul_f16_e32 v44, v53, v96
	;; [unrolled: 1-line block ×12, first 2 shown]
	v_sub_f16_e32 v70, v104, v105
	v_add_f16_e32 v74, v106, v108
	v_sub_f16_e32 v79, v97, v98
	v_sub_f16_e32 v80, v98, v99
	v_add_f16_e32 v81, v97, v99
	v_sub_f16_e32 v94, v99, v97
	v_sub_f16_e32 v96, v46, v61
	;; [unrolled: 1-line block ×4, first 2 shown]
	v_add_f16_e32 v100, v34, v33
	v_add_f16_e32 v101, v36, v35
	;; [unrolled: 1-line block ×6, first 2 shown]
	v_sub_f16_e32 v33, v34, v33
	v_sub_f16_e32 v34, v36, v35
	;; [unrolled: 1-line block ×3, first 2 shown]
	v_fmac_f16_e32 v43, v28, v75
	v_fmac_f16_e32 v44, v29, v8
	;; [unrolled: 1-line block ×6, first 2 shown]
	v_fma_f16 v8, v53, v8, -v58
	v_fma_f16 v27, v50, v75, -v59
	;; [unrolled: 1-line block ×4, first 2 shown]
	v_add_f16_e32 v71, v104, v105
	v_sub_f16_e32 v72, v106, v107
	v_sub_f16_e32 v73, v107, v108
	;; [unrolled: 1-line block ×4, first 2 shown]
	v_add_f16_e32 v41, v41, v42
	v_sub_f16_e32 v92, v105, v103
	v_sub_f16_e32 v42, v42, v2
	v_fma_f16 v28, v51, v77, -v60
	v_fma_f16 v29, v52, v78, -v66
	v_mul_f16_e32 v31, 0x3846, v70
	v_add_f16_e32 v40, v107, v74
	v_add_f16_e32 v51, v98, v81
	;; [unrolled: 1-line block ×4, first 2 shown]
	v_sub_f16_e32 v65, v46, v61
	v_sub_f16_e32 v66, v61, v62
	v_add_f16_e32 v67, v46, v62
	v_sub_f16_e32 v70, v34, v35
	v_sub_f16_e32 v46, v62, v46
	;; [unrolled: 1-line block ×4, first 2 shown]
	v_add_f16_e32 v76, v27, v8
	v_add_f16_e32 v78, v30, v7
	;; [unrolled: 1-line block ×5, first 2 shown]
	v_sub_f16_e32 v69, v103, v104
	v_sub_f16_e32 v93, v108, v106
	v_add_f16_e32 v32, v103, v71
	v_mul_f16_e32 v36, 0x3a52, v72
	v_mul_f16_e32 v39, 0x2b26, v73
	;; [unrolled: 1-line block ×5, first 2 shown]
	v_add_f16_e32 v2, v2, v41
	v_mul_f16_e32 v41, 0xbb00, v92
	v_mul_f16_e32 v53, 0xbb00, v42
	v_sub_f16_e32 v58, v97, v99
	v_sub_f16_e32 v60, v100, v101
	v_sub_f16_e32 v63, v101, v102
	v_sub_f16_e32 v68, v33, v34
	v_add_f16_e32 v34, v34, v35
	v_sub_f16_e32 v71, v99, v96
	v_sub_f16_e32 v35, v35, v33
	;; [unrolled: 1-line block ×3, first 2 shown]
	v_add_f16_e32 v77, v29, v28
	v_sub_f16_e32 v8, v27, v8
	v_sub_f16_e32 v27, v29, v28
	;; [unrolled: 1-line block ×3, first 2 shown]
	v_add_f16_e32 v30, v48, v40
	v_add_f16_e32 v26, v26, v51
	v_add_f16_e32 v56, v96, v59
	v_add_f16_e32 v59, v101, v64
	v_mul_f16_e32 v64, 0x2b26, v66
	v_add_f16_e32 v61, v61, v67
	v_mul_f16_e32 v66, 0x3846, v70
	v_add_f16_e32 v80, v76, v78
	v_add_f16_e32 v89, v43, v45
	v_sub_f16_e32 v54, v96, v97
	v_sub_f16_e32 v73, v102, v100
	v_fmamk_f16 v28, v69, 0xb574, v31
	v_fmamk_f16 v29, v72, 0x3a52, v39
	;; [unrolled: 1-line block ×4, first 2 shown]
	v_fma_f16 v41, v69, 0x3574, -v41
	v_fma_f16 v36, v93, 0xb9e0, -v36
	;; [unrolled: 1-line block ×8, first 2 shown]
	v_mul_f16_e32 v52, 0x3846, v58
	v_mul_f16_e32 v57, 0x3a52, v60
	;; [unrolled: 1-line block ×4, first 2 shown]
	v_add_f16_e32 v33, v33, v34
	v_mul_f16_e32 v34, 0xbb00, v71
	v_mul_f16_e32 v67, 0xbb00, v35
	v_sub_f16_e32 v70, v74, v75
	v_add_f16_e32 v72, v74, v75
	v_sub_f16_e32 v79, v77, v78
	v_sub_f16_e32 v81, v43, v44
	;; [unrolled: 1-line block ×5, first 2 shown]
	v_add_f16_e32 v27, v27, v7
	v_sub_f16_e32 v75, v75, v62
	v_sub_f16_e32 v43, v45, v43
	;; [unrolled: 1-line block ×3, first 2 shown]
	v_fmamk_f16 v40, v40, 0xbcab, v30
	v_fmamk_f16 v45, v51, 0xbcab, v26
	v_add_f16_e32 v47, v47, v59
	v_add_f16_e32 v51, v25, v61
	v_fmamk_f16 v25, v68, 0xb574, v66
	v_fma_f16 v35, v35, 0xbb00, -v66
	v_add_f16_e32 v66, v77, v80
	v_add_f16_e32 v44, v44, v89
	v_mov_b32_e32 v89, v91
	v_sub_f16_e32 v69, v62, v74
	v_sub_f16_e32 v74, v76, v77
	v_fmac_f16_e32 v28, 0xb70e, v32
	v_fmac_f16_e32 v55, 0xb70e, v2
	;; [unrolled: 1-line block ×6, first 2 shown]
	v_pack_b32_f16 v2, v26, v30
	v_fmamk_f16 v26, v54, 0xb574, v52
	v_fmamk_f16 v30, v60, 0x3a52, v58
	;; [unrolled: 1-line block ×3, first 2 shown]
	v_fma_f16 v34, v54, 0x3574, -v34
	v_fma_f16 v54, v73, 0xb9e0, -v57
	v_fma_f16 v57, v46, 0xb9e0, -v63
	v_fma_f16 v60, v68, 0x3574, -v67
	v_fma_f16 v58, v73, 0x39e0, -v58
	v_fma_f16 v52, v71, 0xbb00, -v52
	v_fma_f16 v46, v46, 0x39e0, -v64
	v_mul_f16_e32 v63, 0x3846, v70
	v_mul_f16_e32 v65, 0x2b26, v79
	;; [unrolled: 1-line block ×5, first 2 shown]
	v_add_f16_e32 v8, v8, v27
	v_mul_f16_e32 v27, 0xbb00, v75
	v_mul_f16_e32 v71, 0xbb00, v7
	v_add_f16_e32 v29, v29, v40
	v_add_f16_e32 v48, v48, v45
	;; [unrolled: 1-line block ×6, first 2 shown]
	v_fmamk_f16 v45, v59, 0xbcab, v47
	v_fmamk_f16 v50, v61, 0xbcab, v51
	v_add_f16_e32 v59, v16, v66
	v_add_f16_e32 v23, v23, v44
	v_sub_f16_e32 v76, v78, v76
	v_add_f16_e32 v62, v62, v72
	v_mul_f16_e32 v64, 0x3a52, v74
	v_fmac_f16_e32 v26, 0xb70e, v56
	v_fmac_f16_e32 v25, 0xb70e, v33
	;; [unrolled: 1-line block ×6, first 2 shown]
	v_fmamk_f16 v33, v69, 0xb574, v63
	v_fmamk_f16 v56, v74, 0x3a52, v65
	;; [unrolled: 1-line block ×3, first 2 shown]
	v_fma_f16 v27, v69, 0x3574, -v27
	v_fma_f16 v67, v43, 0xb9e0, -v67
	;; [unrolled: 1-line block ×5, first 2 shown]
	v_sub_f16_e32 v73, v39, v31
	v_add_f16_e32 v74, v42, v40
	v_add_f16_e32 v31, v31, v39
	v_sub_f16_e32 v39, v40, v42
	v_add_f16_e32 v30, v30, v45
	v_add_f16_e32 v32, v32, v50
	;; [unrolled: 1-line block ×5, first 2 shown]
	v_fmamk_f16 v46, v66, 0xbcab, v59
	v_fmamk_f16 v44, v44, 0xbcab, v23
	;; [unrolled: 1-line block ×3, first 2 shown]
	v_fma_f16 v64, v76, 0xb9e0, -v64
	v_fma_f16 v63, v75, 0xbb00, -v63
	v_add_f16_e32 v71, v41, v36
	v_sub_f16_e32 v36, v36, v41
	v_add_f16_e32 v41, v57, v50
	v_fmac_f16_e32 v33, 0xb70e, v62
	v_fmac_f16_e32 v61, 0xb70e, v8
	;; [unrolled: 1-line block ×4, first 2 shown]
	v_sub_f16_e32 v50, v32, v25
	v_sub_f16_e32 v57, v42, v52
	v_add_f16_e32 v42, v52, v42
	v_add_f16_e32 v52, v25, v32
	v_add_f16_e32 v8, v56, v46
	v_add_f16_e32 v32, v43, v44
	v_lshlrev_b64_e32 v[85:86], 2, v[85:86]
	v_add_f16_e32 v68, v28, v29
	v_sub_f16_e32 v70, v48, v55
	v_sub_f16_e32 v28, v29, v28
	v_add_f16_e32 v29, v55, v48
	v_fmac_f16_e32 v27, 0xb70e, v62
	v_fmac_f16_e32 v63, 0xb70e, v62
	v_add_f16_e32 v48, v26, v30
	v_add_f16_e32 v58, v35, v45
	v_sub_f16_e32 v35, v45, v35
	v_sub_f16_e32 v45, v30, v26
	v_add_f16_e32 v16, v16, v44
	v_add_f16_e32 v25, v64, v46
	;; [unrolled: 1-line block ×5, first 2 shown]
	v_sub_f16_e32 v64, v32, v7
	v_sub_f16_e32 v67, v8, v33
	v_mad_co_u64_u32 v[7:8], null, s8, v87, 0
	v_fma_f16 v65, v76, 0x39e0, -v65
	v_sub_f16_e32 v44, v16, v61
	v_add_f16_e32 v61, v61, v16
	v_mad_co_u64_u32 v[16:17], null, s9, v95, v[17:18]
	s_delay_alu instid0(VALU_DEP_4)
	v_add_f16_e32 v30, v65, v46
	v_add_f16_e32 v46, v27, v25
	v_sub_f16_e32 v65, v25, v27
	v_add_co_u32 v25, vcc_lo, v0, v85
	v_sub_f16_e32 v56, v26, v69
	v_add_f16_e32 v66, v69, v26
	s_wait_alu 0xfffd
	v_add_co_ci_u32_e32 v26, vcc_lo, v1, v86, vcc_lo
	v_pack_b32_f16 v17, v29, v28
	global_store_b32 v[83:84], v2, off
	v_dual_mov_b32 v2, v8 :: v_dual_mov_b32 v91, v16
	v_add_nc_u32_e32 v32, 0x4bf, v4
	v_add_f16_e32 v27, v53, v49
	global_store_b32 v[25:26], v17, off
	v_mad_co_u64_u32 v[16:17], null, s9, v87, v[2:3]
	v_lshlrev_b64_e32 v[25:26], 2, v[88:89]
	v_sub_f16_e32 v55, v41, v60
	v_add_f16_e32 v41, v60, v41
	v_sub_f16_e32 v60, v30, v63
	v_add_f16_e32 v63, v63, v30
	v_mad_co_u64_u32 v[29:30], null, s8, v32, 0
	v_pack_b32_f16 v36, v27, v36
	v_lshlrev_b64_e32 v[27:28], 2, v[90:91]
	v_add_co_u32 v25, vcc_lo, v0, v25
	v_dual_mov_b32 v8, v16 :: v_dual_add_nc_u32 v33, 0x5b2, v4
	s_wait_alu 0xfffd
	v_add_co_ci_u32_e32 v26, vcc_lo, v1, v26, vcc_lo
	s_delay_alu instid0(VALU_DEP_4)
	v_add_co_u32 v16, vcc_lo, v0, v27
	v_mov_b32_e32 v2, v30
	s_wait_alu 0xfffd
	v_add_co_ci_u32_e32 v17, vcc_lo, v1, v28, vcc_lo
	v_mad_co_u64_u32 v[27:28], null, s8, v33, 0
	v_lshlrev_b64_e32 v[7:8], 2, v[7:8]
	v_pack_b32_f16 v39, v39, v31
	v_mad_co_u64_u32 v[30:31], null, s9, v32, v[2:3]
	v_mad_co_u64_u32 v[31:32], null, s8, v9, 0
	s_delay_alu instid0(VALU_DEP_4)
	v_add_co_u32 v7, vcc_lo, v0, v7
	v_mov_b32_e32 v2, v28
	s_wait_alu 0xfffd
	v_add_co_ci_u32_e32 v8, vcc_lo, v1, v8, vcc_lo
	v_pack_b32_f16 v28, v74, v73
	v_add_f16_e32 v54, v34, v40
	v_sub_f16_e32 v40, v40, v34
	s_clause 0x2
	global_store_b32 v[25:26], v36, off
	global_store_b32 v[16:17], v39, off
	;; [unrolled: 1-line block ×3, first 2 shown]
	v_add_nc_u32_e32 v39, 0x318, v4
	v_mad_co_u64_u32 v[33:34], null, s9, v33, v[2:3]
	v_mov_b32_e32 v2, v32
	v_add_nc_u32_e32 v34, 0x132, v4
	v_lshlrev_b64_e32 v[7:8], 2, v[29:30]
	v_sub_f16_e32 v72, v49, v53
	v_pack_b32_f16 v36, v70, v68
	v_mad_co_u64_u32 v[16:17], null, s9, v9, v[2:3]
	v_mad_co_u64_u32 v[25:26], null, s8, v34, 0
	v_dual_mov_b32 v28, v33 :: v_dual_add_nc_u32 v33, 0x225, v4
	v_add_co_u32 v7, vcc_lo, v0, v7
	s_delay_alu instid0(VALU_DEP_4) | instskip(NEXT) | instid1(VALU_DEP_3)
	v_mov_b32_e32 v32, v16
	v_lshlrev_b64_e32 v[27:28], 2, v[27:28]
	s_delay_alu instid0(VALU_DEP_4) | instskip(SKIP_1) | instid1(VALU_DEP_4)
	v_mad_co_u64_u32 v[16:17], null, s8, v33, 0
	v_mov_b32_e32 v2, v26
	v_lshlrev_b64_e32 v[29:30], 2, v[31:32]
	s_wait_alu 0xfffd
	v_add_co_ci_u32_e32 v8, vcc_lo, v1, v8, vcc_lo
	v_add_co_u32 v27, vcc_lo, v0, v27
	v_mad_co_u64_u32 v[31:32], null, s9, v34, v[2:3]
	v_mov_b32_e32 v2, v17
	s_wait_alu 0xfffd
	v_add_co_ci_u32_e32 v28, vcc_lo, v1, v28, vcc_lo
	v_pack_b32_f16 v9, v72, v71
	v_add_co_u32 v29, vcc_lo, v0, v29
	s_wait_alu 0xfffd
	v_add_co_ci_u32_e32 v30, vcc_lo, v1, v30, vcc_lo
	v_pack_b32_f16 v17, v23, v59
	v_mad_co_u64_u32 v[32:33], null, s9, v33, v[2:3]
	v_mad_co_u64_u32 v[33:34], null, s8, v39, 0
	v_mov_b32_e32 v26, v31
	s_clause 0x2
	global_store_b32 v[7:8], v9, off
	global_store_b32 v[27:28], v36, off
	;; [unrolled: 1-line block ×3, first 2 shown]
	v_add_nc_u32_e32 v9, 0x40b, v4
	v_pack_b32_f16 v23, v61, v67
	v_mov_b32_e32 v17, v32
	v_lshlrev_b64_e32 v[7:8], 2, v[25:26]
	v_mov_b32_e32 v2, v34
	v_mad_co_u64_u32 v[25:26], null, s8, v9, 0
	s_delay_alu instid0(VALU_DEP_4) | instskip(NEXT) | instid1(VALU_DEP_3)
	v_lshlrev_b64_e32 v[16:17], 2, v[16:17]
	v_mad_co_u64_u32 v[27:28], null, s9, v39, v[2:3]
	v_add_co_u32 v7, vcc_lo, v0, v7
	s_delay_alu instid0(VALU_DEP_4) | instskip(SKIP_3) | instid1(VALU_DEP_3)
	v_mov_b32_e32 v2, v26
	s_wait_alu 0xfffd
	v_add_co_ci_u32_e32 v8, vcc_lo, v1, v8, vcc_lo
	v_add_co_u32 v16, vcc_lo, v0, v16
	v_mad_co_u64_u32 v[28:29], null, s9, v9, v[2:3]
	v_mul_hi_u32 v2, 0x86d90545, v5
	s_wait_alu 0xfffd
	v_add_co_ci_u32_e32 v17, vcc_lo, v1, v17, vcc_lo
	v_pack_b32_f16 v26, v66, v65
	v_add_nc_u32_e32 v9, 0x4fe, v4
	s_clause 0x1
	global_store_b32 v[7:8], v23, off
	global_store_b32 v[16:17], v26, off
	v_add_nc_u32_e32 v23, 0x5f1, v4
	v_mad_co_u64_u32 v[16:17], null, s8, v9, 0
	v_lshrrev_b32_e32 v2, 7, v2
	v_mov_b32_e32 v34, v27
	v_mov_b32_e32 v26, v28
	v_mad_co_u64_u32 v[27:28], null, s8, v23, 0
	s_delay_alu instid0(VALU_DEP_4) | instskip(NEXT) | instid1(VALU_DEP_4)
	v_mad_u32_u24 v36, 0x5b2, v2, v5
	v_lshlrev_b64_e32 v[7:8], 2, v[33:34]
	v_mov_b32_e32 v2, v17
	v_lshlrev_b64_e32 v[25:26], 2, v[25:26]
	v_pack_b32_f16 v34, v64, v63
	v_mad_co_u64_u32 v[29:30], null, s8, v36, 0
	v_mov_b32_e32 v5, v28
	v_mad_co_u64_u32 v[31:32], null, s9, v9, v[2:3]
	v_add_co_u32 v7, vcc_lo, v0, v7
	s_wait_alu 0xfffd
	v_add_co_ci_u32_e32 v8, vcc_lo, v1, v8, vcc_lo
	v_mad_co_u64_u32 v[32:33], null, s9, v23, v[5:6]
	v_add_co_u32 v25, vcc_lo, v0, v25
	s_wait_alu 0xfffd
	v_add_co_ci_u32_e32 v26, vcc_lo, v1, v26, vcc_lo
	v_mov_b32_e32 v2, v30
	v_pack_b32_f16 v5, v62, v60
	v_add_nc_u32_e32 v9, 0xf3, v36
	v_dual_mov_b32 v17, v31 :: v_dual_mov_b32 v28, v32
	s_delay_alu instid0(VALU_DEP_4)
	v_mad_co_u64_u32 v[30:31], null, s9, v36, v[2:3]
	s_clause 0x1
	global_store_b32 v[7:8], v34, off
	global_store_b32 v[25:26], v5, off
	v_mad_co_u64_u32 v[25:26], null, s8, v9, 0
	v_lshlrev_b64_e32 v[7:8], 2, v[16:17]
	v_lshlrev_b64_e32 v[16:17], 2, v[27:28]
	;; [unrolled: 1-line block ×3, first 2 shown]
	v_pack_b32_f16 v5, v56, v46
	v_add_nc_u32_e32 v23, 0x1e6, v36
	v_add_nc_u32_e32 v33, 0x3cc, v36
	v_add_co_u32 v7, vcc_lo, v0, v7
	v_mov_b32_e32 v2, v26
	s_wait_alu 0xfffd
	v_add_co_ci_u32_e32 v8, vcc_lo, v1, v8, vcc_lo
	v_add_co_u32 v16, vcc_lo, v0, v16
	s_wait_alu 0xfffd
	v_add_co_ci_u32_e32 v17, vcc_lo, v1, v17, vcc_lo
	v_mad_co_u64_u32 v[29:30], null, s9, v9, v[2:3]
	v_pack_b32_f16 v2, v44, v43
	v_add_co_u32 v27, vcc_lo, v0, v27
	s_wait_alu 0xfffd
	v_add_co_ci_u32_e32 v28, vcc_lo, v1, v28, vcc_lo
	v_pack_b32_f16 v9, v51, v47
	s_clause 0x1
	global_store_b32 v[7:8], v5, off
	global_store_b32 v[16:17], v2, off
	v_mad_co_u64_u32 v[16:17], null, s8, v23, 0
	v_mov_b32_e32 v26, v29
	global_store_b32 v[27:28], v9, off
	v_add_nc_u32_e32 v9, 0x2d9, v36
	v_mad_co_u64_u32 v[27:28], null, s8, v33, 0
	v_lshlrev_b64_e32 v[7:8], 2, v[25:26]
	v_mov_b32_e32 v2, v17
	s_delay_alu instid0(VALU_DEP_4) | instskip(SKIP_1) | instid1(VALU_DEP_3)
	v_mad_co_u64_u32 v[25:26], null, s8, v9, 0
	v_add_nc_u32_e32 v34, 0x4bf, v36
	v_mad_co_u64_u32 v[29:30], null, s9, v23, v[2:3]
	v_add_co_u32 v7, vcc_lo, v0, v7
	s_delay_alu instid0(VALU_DEP_4)
	v_mov_b32_e32 v5, v26
	s_wait_alu 0xfffd
	v_add_co_ci_u32_e32 v8, vcc_lo, v1, v8, vcc_lo
	v_pack_b32_f16 v23, v52, v45
	v_mov_b32_e32 v17, v29
	v_mad_co_u64_u32 v[30:31], null, s9, v9, v[5:6]
	v_mad_co_u64_u32 v[31:32], null, s8, v34, 0
	v_dual_mov_b32 v2, v28 :: v_dual_add_nc_u32 v5, 0x5b2, v36
	global_store_b32 v[7:8], v23, off
	v_lshlrev_b64_e32 v[7:8], 2, v[16:17]
	v_mov_b32_e32 v26, v30
	v_mad_co_u64_u32 v[16:17], null, s8, v5, 0
	v_mad_co_u64_u32 v[28:29], null, s9, v33, v[2:3]
	v_mov_b32_e32 v2, v32
	s_delay_alu instid0(VALU_DEP_4)
	v_lshlrev_b64_e32 v[25:26], 2, v[25:26]
	v_add_co_u32 v7, vcc_lo, v0, v7
	s_wait_alu 0xfffd
	v_add_co_ci_u32_e32 v8, vcc_lo, v1, v8, vcc_lo
	v_mad_co_u64_u32 v[29:30], null, s9, v34, v[2:3]
	v_mov_b32_e32 v2, v17
	v_lshlrev_b64_e32 v[27:28], 2, v[27:28]
	v_add_co_u32 v25, vcc_lo, v0, v25
	s_wait_alu 0xfffd
	v_add_co_ci_u32_e32 v26, vcc_lo, v1, v26, vcc_lo
	v_mad_co_u64_u32 v[33:34], null, s9, v5, v[2:3]
	v_mov_b32_e32 v32, v29
	v_add_co_u32 v27, vcc_lo, v0, v27
	s_wait_alu 0xfffd
	v_add_co_ci_u32_e32 v28, vcc_lo, v1, v28, vcc_lo
	s_delay_alu instid0(VALU_DEP_3)
	v_lshlrev_b64_e32 v[29:30], 2, v[31:32]
	v_mov_b32_e32 v17, v33
	v_pack_b32_f16 v9, v41, v40
	v_pack_b32_f16 v2, v35, v42
	;; [unrolled: 1-line block ×4, first 2 shown]
	v_lshlrev_b64_e32 v[16:17], 2, v[16:17]
	v_add_co_u32 v29, vcc_lo, v0, v29
	s_wait_alu 0xfffd
	v_add_co_ci_u32_e32 v30, vcc_lo, v1, v30, vcc_lo
	v_pack_b32_f16 v31, v50, v48
	s_delay_alu instid0(VALU_DEP_4)
	v_add_co_u32 v16, vcc_lo, v0, v16
	s_wait_alu 0xfffd
	v_add_co_ci_u32_e32 v17, vcc_lo, v1, v17, vcc_lo
	s_clause 0x4
	global_store_b32 v[7:8], v9, off
	global_store_b32 v[25:26], v2, off
	;; [unrolled: 1-line block ×5, first 2 shown]
	s_and_b32 exec_lo, exec_lo, s0
	s_cbranch_execz .LBB0_20
; %bb.19:
	v_subrev_nc_u32_e32 v2, 54, v4
	v_add_nc_u32_e32 v44, 0x489, v4
	v_add_nc_u32_e32 v46, 0x66f, v4
	;; [unrolled: 1-line block ×3, first 2 shown]
	s_delay_alu instid0(VALU_DEP_4) | instskip(NEXT) | instid1(VALU_DEP_4)
	v_cndmask_b32_e64 v2, v2, v6, s0
	v_mad_co_u64_u32 v[31:32], null, s8, v44, 0
	v_add_nc_u32_e32 v41, 0x1b0, v4
	v_mad_co_u64_u32 v[35:36], null, s8, v46, 0
	s_delay_alu instid0(VALU_DEP_4) | instskip(SKIP_1) | instid1(VALU_DEP_4)
	v_mul_i32_i24_e32 v2, 6, v2
	v_add_nc_u32_e32 v45, 0x57c, v4
	v_mad_co_u64_u32 v[25:26], null, s8, v41, 0
	v_add_nc_u32_e32 v42, 0x2a3, v4
	s_delay_alu instid0(VALU_DEP_4) | instskip(SKIP_3) | instid1(VALU_DEP_4)
	v_lshlrev_b64_e32 v[2:3], 2, v[2:3]
	v_mad_co_u64_u32 v[16:17], null, s8, v39, 0
	v_mad_co_u64_u32 v[33:34], null, s8, v45, 0
	v_mov_b32_e32 v9, v26
	v_add_co_u32 v2, vcc_lo, s4, v2
	s_wait_alu 0xfffd
	v_add_co_ci_u32_e32 v3, vcc_lo, s5, v3, vcc_lo
	v_mad_co_u64_u32 v[27:28], null, s8, v42, 0
	s_clause 0x1
	global_load_b128 v[5:8], v[2:3], off offset:960
	global_load_b64 v[2:3], v[2:3], off offset:976
	v_dual_mov_b32 v4, v17 :: v_dual_add_nc_u32 v43, 0x396, v4
	v_dual_mov_b32 v26, v32 :: v_dual_mov_b32 v17, v28
	v_mov_b32_e32 v28, v34
	s_delay_alu instid0(VALU_DEP_3) | instskip(NEXT) | instid1(VALU_DEP_1)
	v_mad_co_u64_u32 v[29:30], null, s8, v43, 0
	v_dual_mov_b32 v23, v30 :: v_dual_mov_b32 v30, v36
	s_wait_loadcnt 0x1
	v_mad_co_u64_u32 v[39:40], null, s9, v39, v[4:5]
	v_mad_co_u64_u32 v[40:41], null, s9, v41, v[9:10]
	v_mad_co_u64_u32 v[41:42], null, s9, v42, v[17:18]
	v_mad_co_u64_u32 v[42:43], null, s9, v43, v[23:24]
	s_delay_alu instid0(VALU_DEP_4) | instskip(SKIP_3) | instid1(VALU_DEP_4)
	v_mov_b32_e32 v17, v39
	v_mad_co_u64_u32 v[43:44], null, s9, v44, v[26:27]
	v_mov_b32_e32 v26, v40
	v_mad_co_u64_u32 v[44:45], null, s9, v45, v[28:29]
	v_lshlrev_b64_e32 v[16:17], 2, v[16:17]
	v_mov_b32_e32 v28, v41
	s_delay_alu instid0(VALU_DEP_4) | instskip(SKIP_2) | instid1(VALU_DEP_4)
	v_lshlrev_b64_e32 v[25:26], 2, v[25:26]
	v_mad_co_u64_u32 v[45:46], null, s9, v46, v[30:31]
	v_mov_b32_e32 v30, v42
	v_lshlrev_b64_e32 v[27:28], 2, v[27:28]
	v_add_co_u32 v16, vcc_lo, v0, v16
	v_mov_b32_e32 v32, v43
	s_wait_alu 0xfffd
	v_add_co_ci_u32_e32 v17, vcc_lo, v1, v17, vcc_lo
	v_lshlrev_b64_e32 v[29:30], 2, v[29:30]
	v_add_co_u32 v25, vcc_lo, v0, v25
	v_mov_b32_e32 v34, v44
	s_wait_alu 0xfffd
	v_add_co_ci_u32_e32 v26, vcc_lo, v1, v26, vcc_lo
	;; [unrolled: 5-line block ×3, first 2 shown]
	v_lshlrev_b64_e32 v[33:34], 2, v[33:34]
	v_add_co_u32 v29, vcc_lo, v0, v29
	s_wait_alu 0xfffd
	v_add_co_ci_u32_e32 v30, vcc_lo, v1, v30, vcc_lo
	v_lshlrev_b64_e32 v[35:36], 2, v[35:36]
	v_add_co_u32 v31, vcc_lo, v0, v31
	s_wait_alu 0xfffd
	v_add_co_ci_u32_e32 v32, vcc_lo, v1, v32, vcc_lo
	v_add_co_u32 v33, vcc_lo, v0, v33
	s_wait_alu 0xfffd
	v_add_co_ci_u32_e32 v34, vcc_lo, v1, v34, vcc_lo
	;; [unrolled: 3-line block ×3, first 2 shown]
	v_lshrrev_b32_e32 v4, 16, v5
	v_lshrrev_b32_e32 v9, 16, v6
	s_wait_loadcnt 0x0
	v_lshrrev_b32_e32 v36, 16, v2
	v_lshrrev_b32_e32 v39, 16, v3
	;; [unrolled: 1-line block ×4, first 2 shown]
	v_mul_f16_e32 v40, v21, v4
	v_mul_f16_e32 v4, v13, v4
	;; [unrolled: 1-line block ×12, first 2 shown]
	v_fmac_f16_e32 v40, v13, v5
	v_fma_f16 v4, v21, v5, -v4
	v_fmac_f16_e32 v41, v38, v6
	v_fma_f16 v5, v14, v6, -v9
	;; [unrolled: 2-line block ×6, first 2 shown]
	v_add_f16_e32 v8, v40, v45
	v_add_f16_e32 v9, v4, v3
	v_sub_f16_e32 v3, v4, v3
	v_add_f16_e32 v4, v41, v44
	v_add_f16_e32 v12, v5, v2
	v_sub_f16_e32 v13, v41, v44
	v_sub_f16_e32 v2, v5, v2
	v_add_f16_e32 v5, v42, v43
	v_add_f16_e32 v14, v6, v7
	v_sub_f16_e32 v15, v43, v42
	;; [unrolled: 4-line block ×3, first 2 shown]
	v_sub_f16_e32 v20, v4, v8
	v_sub_f16_e32 v21, v12, v9
	;; [unrolled: 1-line block ×6, first 2 shown]
	v_add_f16_e32 v22, v15, v13
	v_add_f16_e32 v23, v6, v2
	v_sub_f16_e32 v24, v15, v13
	v_sub_f16_e32 v35, v6, v2
	;; [unrolled: 1-line block ×3, first 2 shown]
	v_add_f16_e32 v5, v5, v7
	v_add_f16_e32 v7, v14, v18
	v_sub_f16_e32 v13, v13, v11
	v_sub_f16_e32 v15, v11, v15
	;; [unrolled: 1-line block ×3, first 2 shown]
	v_add_f16_e32 v11, v22, v11
	v_add_f16_e32 v3, v23, v3
	v_mul_f16_e32 v8, 0x3a52, v8
	v_mul_f16_e32 v9, 0x3a52, v9
	;; [unrolled: 1-line block ×7, first 2 shown]
	v_add_f16_e32 v10, v10, v5
	v_add_f16_e32 v19, v19, v7
	v_mul_f16_e32 v24, 0xbb00, v13
	v_fmamk_f16 v4, v4, 0x2b26, v8
	v_fmamk_f16 v12, v12, 0x2b26, v9
	v_fma_f16 v14, v20, 0x39e0, -v14
	v_fma_f16 v18, v21, 0x39e0, -v18
	;; [unrolled: 1-line block ×4, first 2 shown]
	v_fmamk_f16 v20, v15, 0xb574, v22
	v_fmamk_f16 v21, v6, 0xb574, v23
	v_fma_f16 v2, v2, 0xbb00, -v23
	v_fma_f16 v6, v6, 0x3574, -v35
	v_fmamk_f16 v5, v5, 0xbcab, v10
	v_fmamk_f16 v7, v7, 0xbcab, v19
	v_fma_f16 v13, v13, 0xbb00, -v22
	v_fma_f16 v15, v15, 0x3574, -v24
	v_fmac_f16_e32 v20, 0xb70e, v11
	v_fmac_f16_e32 v21, 0xb70e, v3
	;; [unrolled: 1-line block ×4, first 2 shown]
	v_pack_b32_f16 v3, v10, v19
	v_add_f16_e32 v4, v4, v5
	v_add_f16_e32 v10, v12, v7
	v_fmac_f16_e32 v13, 0xb70e, v11
	v_fmac_f16_e32 v15, 0xb70e, v11
	v_add_f16_e32 v11, v14, v5
	v_add_f16_e32 v12, v18, v7
	;; [unrolled: 1-line block ×4, first 2 shown]
	global_store_b32 v[16:17], v3, off
	v_add_f16_e32 v3, v21, v4
	v_sub_f16_e32 v8, v10, v20
	v_add_f16_e32 v9, v6, v5
	v_sub_f16_e32 v14, v7, v15
	v_sub_f16_e32 v16, v11, v2
	v_add_f16_e32 v17, v13, v12
	v_add_f16_e32 v2, v2, v11
	v_sub_f16_e32 v11, v12, v13
	v_sub_f16_e32 v5, v5, v6
	v_add_f16_e32 v6, v15, v7
	v_sub_f16_e32 v4, v4, v21
	v_add_f16_e32 v7, v20, v10
	v_pack_b32_f16 v3, v3, v8
	v_pack_b32_f16 v8, v9, v14
	v_pack_b32_f16 v9, v16, v17
	v_pack_b32_f16 v2, v2, v11
	v_pack_b32_f16 v5, v5, v6
	v_pack_b32_f16 v4, v4, v7
	s_clause 0x5
	global_store_b32 v[25:26], v3, off
	global_store_b32 v[27:28], v8, off
	;; [unrolled: 1-line block ×6, first 2 shown]
.LBB0_20:
	s_nop 0
	s_sendmsg sendmsg(MSG_DEALLOC_VGPRS)
	s_endpgm
	.section	.rodata,"a",@progbits
	.p2align	6, 0x0
	.amdhsa_kernel fft_rtc_back_len1701_factors_3_3_3_3_3_7_wgs_63_tpt_63_halfLds_half_ip_CI_sbrr_dirReg
		.amdhsa_group_segment_fixed_size 0
		.amdhsa_private_segment_fixed_size 0
		.amdhsa_kernarg_size 88
		.amdhsa_user_sgpr_count 2
		.amdhsa_user_sgpr_dispatch_ptr 0
		.amdhsa_user_sgpr_queue_ptr 0
		.amdhsa_user_sgpr_kernarg_segment_ptr 1
		.amdhsa_user_sgpr_dispatch_id 0
		.amdhsa_user_sgpr_private_segment_size 0
		.amdhsa_wavefront_size32 1
		.amdhsa_uses_dynamic_stack 0
		.amdhsa_enable_private_segment 0
		.amdhsa_system_sgpr_workgroup_id_x 1
		.amdhsa_system_sgpr_workgroup_id_y 0
		.amdhsa_system_sgpr_workgroup_id_z 0
		.amdhsa_system_sgpr_workgroup_info 0
		.amdhsa_system_vgpr_workitem_id 0
		.amdhsa_next_free_vgpr 133
		.amdhsa_next_free_sgpr 35
		.amdhsa_reserve_vcc 1
		.amdhsa_float_round_mode_32 0
		.amdhsa_float_round_mode_16_64 0
		.amdhsa_float_denorm_mode_32 3
		.amdhsa_float_denorm_mode_16_64 3
		.amdhsa_fp16_overflow 0
		.amdhsa_workgroup_processor_mode 1
		.amdhsa_memory_ordered 1
		.amdhsa_forward_progress 0
		.amdhsa_round_robin_scheduling 0
		.amdhsa_exception_fp_ieee_invalid_op 0
		.amdhsa_exception_fp_denorm_src 0
		.amdhsa_exception_fp_ieee_div_zero 0
		.amdhsa_exception_fp_ieee_overflow 0
		.amdhsa_exception_fp_ieee_underflow 0
		.amdhsa_exception_fp_ieee_inexact 0
		.amdhsa_exception_int_div_zero 0
	.end_amdhsa_kernel
	.text
.Lfunc_end0:
	.size	fft_rtc_back_len1701_factors_3_3_3_3_3_7_wgs_63_tpt_63_halfLds_half_ip_CI_sbrr_dirReg, .Lfunc_end0-fft_rtc_back_len1701_factors_3_3_3_3_3_7_wgs_63_tpt_63_halfLds_half_ip_CI_sbrr_dirReg
                                        ; -- End function
	.section	.AMDGPU.csdata,"",@progbits
; Kernel info:
; codeLenInByte = 22140
; NumSgprs: 37
; NumVgprs: 133
; ScratchSize: 0
; MemoryBound: 0
; FloatMode: 240
; IeeeMode: 1
; LDSByteSize: 0 bytes/workgroup (compile time only)
; SGPRBlocks: 4
; VGPRBlocks: 16
; NumSGPRsForWavesPerEU: 37
; NumVGPRsForWavesPerEU: 133
; Occupancy: 10
; WaveLimiterHint : 1
; COMPUTE_PGM_RSRC2:SCRATCH_EN: 0
; COMPUTE_PGM_RSRC2:USER_SGPR: 2
; COMPUTE_PGM_RSRC2:TRAP_HANDLER: 0
; COMPUTE_PGM_RSRC2:TGID_X_EN: 1
; COMPUTE_PGM_RSRC2:TGID_Y_EN: 0
; COMPUTE_PGM_RSRC2:TGID_Z_EN: 0
; COMPUTE_PGM_RSRC2:TIDIG_COMP_CNT: 0
	.text
	.p2alignl 7, 3214868480
	.fill 96, 4, 3214868480
	.type	__hip_cuid_bc1c7a9d53cc7a53,@object ; @__hip_cuid_bc1c7a9d53cc7a53
	.section	.bss,"aw",@nobits
	.globl	__hip_cuid_bc1c7a9d53cc7a53
__hip_cuid_bc1c7a9d53cc7a53:
	.byte	0                               ; 0x0
	.size	__hip_cuid_bc1c7a9d53cc7a53, 1

	.ident	"AMD clang version 19.0.0git (https://github.com/RadeonOpenCompute/llvm-project roc-6.4.0 25133 c7fe45cf4b819c5991fe208aaa96edf142730f1d)"
	.section	".note.GNU-stack","",@progbits
	.addrsig
	.addrsig_sym __hip_cuid_bc1c7a9d53cc7a53
	.amdgpu_metadata
---
amdhsa.kernels:
  - .args:
      - .actual_access:  read_only
        .address_space:  global
        .offset:         0
        .size:           8
        .value_kind:     global_buffer
      - .offset:         8
        .size:           8
        .value_kind:     by_value
      - .actual_access:  read_only
        .address_space:  global
        .offset:         16
        .size:           8
        .value_kind:     global_buffer
      - .actual_access:  read_only
        .address_space:  global
        .offset:         24
        .size:           8
        .value_kind:     global_buffer
      - .offset:         32
        .size:           8
        .value_kind:     by_value
      - .actual_access:  read_only
        .address_space:  global
        .offset:         40
        .size:           8
        .value_kind:     global_buffer
      - .actual_access:  read_only
        .address_space:  global
        .offset:         48
        .size:           8
        .value_kind:     global_buffer
      - .offset:         56
        .size:           4
        .value_kind:     by_value
      - .actual_access:  read_only
        .address_space:  global
        .offset:         64
        .size:           8
        .value_kind:     global_buffer
      - .actual_access:  read_only
        .address_space:  global
        .offset:         72
        .size:           8
        .value_kind:     global_buffer
      - .address_space:  global
        .offset:         80
        .size:           8
        .value_kind:     global_buffer
    .group_segment_fixed_size: 0
    .kernarg_segment_align: 8
    .kernarg_segment_size: 88
    .language:       OpenCL C
    .language_version:
      - 2
      - 0
    .max_flat_workgroup_size: 63
    .name:           fft_rtc_back_len1701_factors_3_3_3_3_3_7_wgs_63_tpt_63_halfLds_half_ip_CI_sbrr_dirReg
    .private_segment_fixed_size: 0
    .sgpr_count:     37
    .sgpr_spill_count: 0
    .symbol:         fft_rtc_back_len1701_factors_3_3_3_3_3_7_wgs_63_tpt_63_halfLds_half_ip_CI_sbrr_dirReg.kd
    .uniform_work_group_size: 1
    .uses_dynamic_stack: false
    .vgpr_count:     133
    .vgpr_spill_count: 0
    .wavefront_size: 32
    .workgroup_processor_mode: 1
amdhsa.target:   amdgcn-amd-amdhsa--gfx1201
amdhsa.version:
  - 1
  - 2
...

	.end_amdgpu_metadata
